;; amdgpu-corpus repo=ROCm/rocFFT kind=compiled arch=gfx906 opt=O3
	.text
	.amdgcn_target "amdgcn-amd-amdhsa--gfx906"
	.amdhsa_code_object_version 6
	.protected	bluestein_single_back_len120_dim1_half_op_CI_CI ; -- Begin function bluestein_single_back_len120_dim1_half_op_CI_CI
	.globl	bluestein_single_back_len120_dim1_half_op_CI_CI
	.p2align	8
	.type	bluestein_single_back_len120_dim1_half_op_CI_CI,@function
bluestein_single_back_len120_dim1_half_op_CI_CI: ; @bluestein_single_back_len120_dim1_half_op_CI_CI
; %bb.0:
	v_mul_u32_u24_e32 v1, 0x1556, v0
	s_load_dwordx4 s[8:11], s[4:5], 0x28
	v_lshrrev_b32_e32 v1, 16, v1
	v_mad_u64_u32 v[10:11], s[0:1], s6, 5, v[1:2]
	v_mov_b32_e32 v17, 0
	v_mov_b32_e32 v11, v17
	s_waitcnt lgkmcnt(0)
	v_cmp_gt_u64_e32 vcc, s[8:9], v[10:11]
	s_and_saveexec_b64 s[0:1], vcc
	s_cbranch_execz .LBB0_15
; %bb.1:
	s_load_dwordx4 s[0:3], s[4:5], 0x18
	v_mul_lo_u16_e32 v1, 12, v1
	v_sub_u16_e32 v21, v0, v1
	v_or_b32_e32 v25, 0x50, v21
	v_lshlrev_b32_e32 v11, 2, v21
	s_waitcnt lgkmcnt(0)
	s_load_dwordx4 s[12:15], s[0:1], 0x0
	v_or_b32_e32 v23, 32, v21
	s_waitcnt lgkmcnt(0)
	v_mad_u64_u32 v[4:5], s[0:1], s12, v21, 0
	v_mad_u64_u32 v[0:1], s[0:1], s14, v10, 0
	v_mov_b32_e32 v2, v5
	s_mul_i32 s7, s12, 0x50
	v_mad_u64_u32 v[5:6], s[0:1], s15, v10, v[1:2]
	v_mad_u64_u32 v[2:3], s[0:1], s13, v21, v[2:3]
	v_mov_b32_e32 v1, v5
	v_lshlrev_b64 v[0:1], 2, v[0:1]
	v_mov_b32_e32 v3, s11
	v_mov_b32_e32 v5, v2
	v_add_co_u32_e32 v2, vcc, s10, v0
	v_addc_co_u32_e32 v3, vcc, v3, v1, vcc
	v_lshlrev_b64 v[0:1], 2, v[4:5]
	s_mul_i32 s0, s13, 0x50
	v_add_co_u32_e32 v0, vcc, v2, v0
	s_mul_hi_u32 s1, s12, 0x50
	v_addc_co_u32_e32 v1, vcc, v3, v1, vcc
	s_add_i32 s6, s1, s0
	v_mov_b32_e32 v5, s6
	v_add_co_u32_e32 v4, vcc, s7, v0
	v_addc_co_u32_e32 v5, vcc, v1, v5, vcc
	s_load_dwordx2 s[14:15], s[4:5], 0x0
	v_mov_b32_e32 v7, s6
	v_add_co_u32_e32 v6, vcc, s7, v4
	v_addc_co_u32_e32 v7, vcc, v5, v7, vcc
	global_load_dword v12, v[0:1], off
	global_load_dword v13, v[4:5], off
	;; [unrolled: 1-line block ×3, first 2 shown]
	v_mad_u64_u32 v[0:1], s[0:1], s12, v25, 0
	s_waitcnt lgkmcnt(0)
	global_load_dword v30, v11, s[14:15]
	global_load_dword v29, v11, s[14:15] offset:80
	global_load_dword v28, v11, s[14:15] offset:160
	v_mov_b32_e32 v8, s6
	v_mad_u64_u32 v[4:5], s[0:1], s13, v25, v[1:2]
	v_add_co_u32_e32 v5, vcc, s7, v6
	v_mov_b32_e32 v1, v4
	v_lshlrev_b64 v[0:1], 2, v[0:1]
	v_addc_co_u32_e32 v6, vcc, v7, v8, vcc
	v_add_co_u32_e32 v0, vcc, v2, v0
	v_addc_co_u32_e32 v1, vcc, v3, v1, vcc
	global_load_dword v4, v[5:6], off
	global_load_dword v7, v[0:1], off
	global_load_dword v27, v11, s[14:15] offset:240
	global_load_dword v26, v11, s[14:15] offset:320
	s_mul_i32 s0, s13, 40
	s_mul_hi_u32 s1, s12, 40
	s_add_i32 s1, s1, s0
	s_mul_i32 s0, s12, 40
	s_lshl_b64 s[16:17], s[0:1], 2
	v_mov_b32_e32 v1, s17
	v_add_co_u32_e32 v0, vcc, s16, v5
	v_addc_co_u32_e32 v1, vcc, v6, v1, vcc
	global_load_dword v5, v[0:1], off
	global_load_dword v24, v11, s[14:15] offset:400
	s_mov_b32 s0, 0xcccccccd
	v_mul_hi_u32 v6, v10, s0
	v_add_co_u32_e32 v8, vcc, s14, v11
	s_load_dwordx2 s[6:7], s[4:5], 0x38
	s_load_dwordx4 s[8:11], s[2:3], 0x0
	v_lshrrev_b32_e32 v6, 2, v6
	v_lshl_add_u32 v6, v6, 2, v6
	v_sub_u32_e32 v6, v10, v6
	v_mul_u32_u24_e32 v6, 0x78, v6
	v_lshlrev_b32_e32 v31, 2, v6
	v_add_u32_e32 v22, v11, v31
	v_mov_b32_e32 v9, s15
	v_addc_co_u32_e32 v9, vcc, 0, v9, vcc
	v_cmp_gt_u16_e32 vcc, 8, v21
	s_waitcnt vmcnt(11)
	v_lshrrev_b32_e32 v6, 16, v12
	s_waitcnt vmcnt(8)
	v_mul_f16_sdwa v11, v30, v12 dst_sel:DWORD dst_unused:UNUSED_PAD src0_sel:WORD_1 src1_sel:DWORD
	v_mul_f16_sdwa v15, v30, v6 dst_sel:DWORD dst_unused:UNUSED_PAD src0_sel:WORD_1 src1_sel:DWORD
	v_fma_f16 v6, v30, v6, -v11
	v_lshrrev_b32_e32 v11, 16, v13
	s_waitcnt vmcnt(7)
	v_mul_f16_sdwa v16, v29, v13 dst_sel:DWORD dst_unused:UNUSED_PAD src0_sel:WORD_1 src1_sel:DWORD
	v_fma_f16 v12, v30, v12, v15
	v_mul_f16_sdwa v15, v29, v11 dst_sel:DWORD dst_unused:UNUSED_PAD src0_sel:WORD_1 src1_sel:DWORD
	v_fma_f16 v11, v29, v11, -v16
	v_pack_b32_f16 v6, v12, v6
	v_fma_f16 v12, v29, v13, v15
	v_pack_b32_f16 v11, v12, v11
	ds_write2_b32 v22, v6, v11 offset1:20
	v_lshrrev_b32_e32 v6, 16, v14
	s_waitcnt vmcnt(6)
	v_mul_f16_sdwa v11, v28, v6 dst_sel:DWORD dst_unused:UNUSED_PAD src0_sel:WORD_1 src1_sel:DWORD
	v_mul_f16_sdwa v12, v28, v14 dst_sel:DWORD dst_unused:UNUSED_PAD src0_sel:WORD_1 src1_sel:DWORD
	v_fma_f16 v11, v28, v14, v11
	v_fma_f16 v6, v28, v6, -v12
	v_pack_b32_f16 v6, v11, v6
	s_waitcnt vmcnt(5)
	v_lshrrev_b32_e32 v11, 16, v4
	s_waitcnt vmcnt(3)
	v_mul_f16_sdwa v12, v27, v11 dst_sel:DWORD dst_unused:UNUSED_PAD src0_sel:WORD_1 src1_sel:DWORD
	v_fma_f16 v12, v27, v4, v12
	v_mul_f16_sdwa v4, v27, v4 dst_sel:DWORD dst_unused:UNUSED_PAD src0_sel:WORD_1 src1_sel:DWORD
	v_fma_f16 v4, v27, v11, -v4
	v_pack_b32_f16 v4, v12, v4
	ds_write2_b32 v22, v6, v4 offset0:40 offset1:60
	v_lshrrev_b32_e32 v4, 16, v7
	s_waitcnt vmcnt(2)
	v_mul_f16_sdwa v6, v26, v4 dst_sel:DWORD dst_unused:UNUSED_PAD src0_sel:WORD_1 src1_sel:DWORD
	v_fma_f16 v6, v26, v7, v6
	v_mul_f16_sdwa v7, v26, v7 dst_sel:DWORD dst_unused:UNUSED_PAD src0_sel:WORD_1 src1_sel:DWORD
	v_fma_f16 v4, v26, v4, -v7
	v_pack_b32_f16 v4, v6, v4
	s_waitcnt vmcnt(1)
	v_lshrrev_b32_e32 v6, 16, v5
	s_waitcnt vmcnt(0)
	v_mul_f16_sdwa v7, v24, v6 dst_sel:DWORD dst_unused:UNUSED_PAD src0_sel:WORD_1 src1_sel:DWORD
	v_fma_f16 v7, v24, v5, v7
	v_mul_f16_sdwa v5, v24, v5 dst_sel:DWORD dst_unused:UNUSED_PAD src0_sel:WORD_1 src1_sel:DWORD
	v_fma_f16 v5, v24, v6, -v5
	v_pack_b32_f16 v5, v7, v5
	ds_write2_b32 v22, v4, v5 offset0:80 offset1:100
	s_and_saveexec_b64 s[2:3], vcc
	s_cbranch_execz .LBB0_3
; %bb.2:
	v_mad_u64_u32 v[4:5], s[0:1], s12, v23, 0
	v_mov_b32_e32 v6, 0xfffffea0
	v_mad_u64_u32 v[0:1], s[0:1], s12, v6, v[0:1]
	v_mad_u64_u32 v[5:6], s[0:1], s13, v23, v[5:6]
	s_mul_i32 s18, s13, 0xfffffea0
	s_sub_i32 s0, s18, s12
	v_or_b32_e32 v12, 0x48, v21
	v_add_u32_e32 v1, s0, v1
	v_lshlrev_b64 v[4:5], 2, v[4:5]
	v_mad_u64_u32 v[6:7], s[0:1], s12, v12, 0
	v_add_co_u32_e64 v4, s[0:1], v2, v4
	v_addc_co_u32_e64 v5, s[0:1], v3, v5, s[0:1]
	global_load_dword v13, v[4:5], off
	v_mov_b32_e32 v4, v7
	v_mad_u64_u32 v[4:5], s[0:1], s13, v12, v[4:5]
	global_load_dword v11, v[0:1], off
	v_mov_b32_e32 v14, s17
	v_add_co_u32_e64 v0, s[0:1], s16, v0
	v_addc_co_u32_e64 v1, s[0:1], v1, v14, s[0:1]
	global_load_dword v12, v[0:1], off
	v_mov_b32_e32 v7, v4
	v_add_co_u32_e64 v0, s[0:1], s16, v0
	v_or_b32_e32 v15, 0x70, v21
	v_lshlrev_b64 v[4:5], 2, v[6:7]
	v_addc_co_u32_e64 v1, s[0:1], v1, v14, s[0:1]
	v_mad_u64_u32 v[6:7], s[0:1], s12, v15, 0
	global_load_dword v14, v[8:9], off offset:48
	global_load_dword v16, v[8:9], off offset:128
	;; [unrolled: 1-line block ×3, first 2 shown]
	global_load_dword v19, v[0:1], off
	global_load_dword v20, v[8:9], off offset:288
	global_load_dword v32, v[8:9], off offset:368
	v_mov_b32_e32 v0, v7
	v_mad_u64_u32 v[0:1], s[0:1], s13, v15, v[0:1]
	v_add_co_u32_e64 v4, s[0:1], v2, v4
	v_mov_b32_e32 v7, v0
	v_lshlrev_b64 v[0:1], 2, v[6:7]
	v_addc_co_u32_e64 v5, s[0:1], v3, v5, s[0:1]
	global_load_dword v4, v[4:5], off
	v_add_co_u32_e64 v0, s[0:1], v2, v0
	v_addc_co_u32_e64 v1, s[0:1], v3, v1, s[0:1]
	global_load_dword v2, v[0:1], off
	global_load_dword v3, v[8:9], off offset:448
	s_waitcnt vmcnt(10)
	v_lshrrev_b32_e32 v0, 16, v11
	s_waitcnt vmcnt(8)
	v_mul_f16_sdwa v1, v14, v11 dst_sel:DWORD dst_unused:UNUSED_PAD src0_sel:WORD_1 src1_sel:DWORD
	v_mul_f16_sdwa v5, v14, v0 dst_sel:DWORD dst_unused:UNUSED_PAD src0_sel:WORD_1 src1_sel:DWORD
	v_fma_f16 v0, v14, v0, -v1
	v_lshrrev_b32_e32 v1, 16, v12
	s_waitcnt vmcnt(6)
	v_mul_f16_sdwa v6, v18, v12 dst_sel:DWORD dst_unused:UNUSED_PAD src0_sel:WORD_1 src1_sel:DWORD
	v_fma_f16 v5, v14, v11, v5
	v_mul_f16_sdwa v7, v18, v1 dst_sel:DWORD dst_unused:UNUSED_PAD src0_sel:WORD_1 src1_sel:DWORD
	v_fma_f16 v1, v18, v1, -v6
	s_waitcnt vmcnt(5)
	v_lshrrev_b32_e32 v6, 16, v19
	s_waitcnt vmcnt(3)
	v_mul_f16_sdwa v11, v32, v19 dst_sel:DWORD dst_unused:UNUSED_PAD src0_sel:WORD_1 src1_sel:DWORD
	v_pack_b32_f16 v0, v5, v0
	v_fma_f16 v5, v18, v12, v7
	v_mul_f16_sdwa v7, v32, v6 dst_sel:DWORD dst_unused:UNUSED_PAD src0_sel:WORD_1 src1_sel:DWORD
	v_fma_f16 v6, v32, v6, -v11
	v_pack_b32_f16 v1, v5, v1
	v_fma_f16 v5, v32, v19, v7
	v_pack_b32_f16 v5, v5, v6
	v_lshrrev_b32_e32 v6, 16, v13
	v_mul_f16_sdwa v7, v16, v13 dst_sel:DWORD dst_unused:UNUSED_PAD src0_sel:WORD_1 src1_sel:DWORD
	v_mul_f16_sdwa v11, v16, v6 dst_sel:DWORD dst_unused:UNUSED_PAD src0_sel:WORD_1 src1_sel:DWORD
	v_fma_f16 v6, v16, v6, -v7
	s_waitcnt vmcnt(2)
	v_lshrrev_b32_e32 v7, 16, v4
	v_mul_f16_sdwa v12, v20, v4 dst_sel:DWORD dst_unused:UNUSED_PAD src0_sel:WORD_1 src1_sel:DWORD
	s_waitcnt vmcnt(1)
	v_lshrrev_b32_e32 v14, 16, v2
	v_fma_f16 v11, v16, v13, v11
	v_mul_f16_sdwa v13, v20, v7 dst_sel:DWORD dst_unused:UNUSED_PAD src0_sel:WORD_1 src1_sel:DWORD
	s_waitcnt vmcnt(0)
	v_mul_f16_sdwa v15, v3, v2 dst_sel:DWORD dst_unused:UNUSED_PAD src0_sel:WORD_1 src1_sel:DWORD
	v_fma_f16 v7, v20, v7, -v12
	v_mul_f16_sdwa v12, v3, v14 dst_sel:DWORD dst_unused:UNUSED_PAD src0_sel:WORD_1 src1_sel:DWORD
	v_pack_b32_f16 v6, v11, v6
	v_fma_f16 v4, v20, v4, v13
	v_fma_f16 v14, v3, v14, -v15
	v_fma_f16 v2, v3, v2, v12
	ds_write2_b32 v22, v0, v6 offset0:12 offset1:32
	v_pack_b32_f16 v0, v4, v7
	ds_write2_b32 v22, v1, v0 offset0:52 offset1:72
	v_pack_b32_f16 v0, v2, v14
	ds_write2_b32 v22, v5, v0 offset0:92 offset1:112
.LBB0_3:
	s_or_b64 exec, exec, s[2:3]
	s_waitcnt lgkmcnt(0)
	; wave barrier
	s_waitcnt lgkmcnt(0)
	ds_read2_b32 v[6:7], v22 offset1:20
	ds_read2_b32 v[13:14], v22 offset0:40 offset1:60
	ds_read2_b32 v[15:16], v22 offset0:80 offset1:100
	s_load_dwordx2 s[2:3], s[4:5], 0x8
                                        ; implicit-def: $vgpr1
                                        ; implicit-def: $vgpr5
                                        ; implicit-def: $vgpr3
	s_and_saveexec_b64 s[0:1], vcc
	s_cbranch_execz .LBB0_5
; %bb.4:
	ds_read2_b32 v[2:3], v22 offset0:12 offset1:32
	ds_read2_b32 v[4:5], v22 offset0:52 offset1:72
	ds_read2_b32 v[0:1], v22 offset0:92 offset1:112
.LBB0_5:
	s_or_b64 exec, exec, s[0:1]
	v_add_co_u32_e64 v35, s[0:1], 12, v21
	s_waitcnt lgkmcnt(0)
	v_pk_add_f16 v11, v0, v4
	v_pk_fma_f16 v12, v11, 0.5, v2 op_sel_hi:[1,0,1] neg_lo:[1,0,0] neg_hi:[1,0,0]
	v_pk_add_f16 v11, v4, v0 neg_lo:[0,1] neg_hi:[0,1]
	s_movk_i32 s0, 0x3aee
	v_pk_add_f16 v42, v14, v16
	v_pk_add_f16 v40, v7, v14
	v_pk_mul_f16 v18, v11, s0 op_sel_hi:[1,0]
	v_pk_add_f16 v41, v13, v15
	v_pk_add_f16 v14, v14, v16 neg_lo:[0,1] neg_hi:[0,1]
	v_pk_fma_f16 v7, v42, 0.5, v7 op_sel_hi:[1,0,1] neg_lo:[1,0,0] neg_hi:[1,0,0]
	v_pk_add_f16 v39, v6, v13
	v_pk_add_f16 v11, v18, v12 op_sel:[1,0] op_sel_hi:[0,1]
	v_pk_add_f16 v18, v12, v18 op_sel:[0,1] op_sel_hi:[1,0] neg_lo:[0,1] neg_hi:[0,1]
	s_mov_b32 s1, 0xffff
	v_pk_add_f16 v12, v1, v5
	v_pk_fma_f16 v6, v41, 0.5, v6 op_sel_hi:[1,0,1] neg_lo:[1,0,0] neg_hi:[1,0,0]
	v_pk_fma_f16 v41, v14, s0, v7 op_sel:[0,0,1] op_sel_hi:[1,0,0]
	v_pk_fma_f16 v7, v14, s0, v7 op_sel:[0,0,1] op_sel_hi:[1,0,0] neg_lo:[1,0,0] neg_hi:[1,0,0]
	v_pk_fma_f16 v12, v12, 0.5, v3 op_sel_hi:[1,0,1] neg_lo:[1,0,0] neg_hi:[1,0,0]
	v_pk_add_f16 v20, v5, v1 neg_lo:[0,1] neg_hi:[0,1]
	v_pk_add_f16 v39, v39, v15
	v_pk_add_f16 v15, v13, v15 neg_lo:[0,1] neg_hi:[0,1]
	v_lshrrev_b32_e32 v42, 16, v41
	v_bfi_b32 v14, s1, v41, v7
	v_mul_f16_e32 v41, 0x3aee, v7
	v_pk_fma_f16 v32, v20, s0, v12 op_sel:[0,0,1] op_sel_hi:[1,0,0]
	v_pk_fma_f16 v12, v20, s0, v12 op_sel:[0,0,1] op_sel_hi:[1,0,0] neg_lo:[1,0,0] neg_hi:[1,0,0]
	v_pk_mul_f16 v15, v15, s0 op_sel_hi:[1,0]
	v_fma_f16 v41, v42, 0.5, v41
	v_mul_f16_e32 v42, 0xbaee, v42
	v_lshrrev_b32_e32 v33, 16, v32
	v_mul_f16_e32 v20, 0x3aee, v12
	s_mov_b32 s4, 0xbaee3aee
	v_pk_add_f16 v40, v40, v16
	v_pk_add_f16 v16, v6, v15 op_sel:[0,1] op_sel_hi:[1,0]
	v_pk_add_f16 v15, v6, v15 op_sel:[0,1] op_sel_hi:[1,0] neg_lo:[0,1] neg_hi:[0,1]
	v_fma_f16 v42, v7, 0.5, v42
	v_pk_mul_f16 v7, v14, 0.5 op_sel_hi:[1,0]
	v_bfi_b32 v32, s1, v32, v12
	v_fma_f16 v20, v33, 0.5, v20
	v_mul_f16_e32 v33, 0xbaee, v33
	v_mul_lo_u16_e32 v36, 6, v21
	v_pk_add_f16 v13, v39, v40
	v_bfi_b32 v6, s1, v15, v16
	v_pk_fma_f16 v43, v14, s4, v7 op_sel:[0,0,1] op_sel_hi:[1,1,0] neg_lo:[0,0,1] neg_hi:[0,0,1]
	v_add_f16_e32 v14, v16, v41
	v_pk_add_f16 v7, v39, v40 neg_lo:[0,1] neg_hi:[0,1]
	v_add_f16_sdwa v39, v15, v42 dst_sel:DWORD dst_unused:UNUSED_PAD src0_sel:WORD_1 src1_sel:DWORD
	v_fma_f16 v37, v12, 0.5, v33
	v_pk_mul_f16 v12, v32, 0.5 op_sel_hi:[1,0]
	v_lshl_add_u32 v36, v36, 2, v31
	v_pk_add_f16 v6, v6, v43
	v_pack_b32_f16 v14, v14, v39
	v_bfi_b32 v19, s1, v18, v11
	v_pk_fma_f16 v38, v32, s4, v12 op_sel:[0,0,1] op_sel_hi:[1,1,0] neg_lo:[0,0,1] neg_hi:[0,0,1]
	s_waitcnt lgkmcnt(0)
	; wave barrier
	ds_write2_b64 v36, v[13:14], v[6:7] offset1:1
	v_pack_b32_f16 v6, v42, v43
	v_pk_add_f16 v32, v19, v38 neg_lo:[0,1] neg_hi:[0,1]
	v_sub_f16_e32 v40, v16, v41
	v_sub_f16_sdwa v16, v16, v43 dst_sel:DWORD dst_unused:UNUSED_PAD src0_sel:WORD_1 src1_sel:WORD_1
	v_pk_add_f16 v6, v15, v6 op_sel:[1,0] op_sel_hi:[0,1] neg_lo:[0,1] neg_hi:[0,1]
	v_sub_f16_e32 v12, v11, v20
	v_sub_f16_sdwa v33, v18, v37 dst_sel:DWORD dst_unused:UNUSED_PAD src0_sel:WORD_1 src1_sel:DWORD
	v_lshrrev_b32_e32 v34, 16, v32
	v_alignbit_b32 v7, v16, v6, 16
	v_pack_b32_f16 v6, v40, v6
	v_mul_u32_u24_e32 v35, 6, v35
	ds_write_b64 v36, v[6:7] offset:16
	s_and_saveexec_b64 s[0:1], vcc
	s_cbranch_execz .LBB0_7
; %bb.6:
	v_pk_add_f16 v4, v4, v2
	v_pk_add_f16 v3, v5, v3
	v_add_f16_sdwa v5, v18, v37 dst_sel:DWORD dst_unused:UNUSED_PAD src0_sel:WORD_1 src1_sel:DWORD
	v_add_f16_e32 v6, v11, v20
	v_pk_add_f16 v4, v0, v4
	v_pk_add_f16 v1, v1, v3
	;; [unrolled: 1-line block ×3, first 2 shown]
	v_lshl_add_u32 v7, v35, 2, v31
	v_pk_add_f16 v0, v1, v4
	v_pk_add_f16 v3, v4, v1 neg_lo:[0,1] neg_hi:[0,1]
	v_pack_b32_f16 v1, v6, v5
	s_mov_b32 s4, 0x5040100
	ds_write2_b64 v7, v[0:1], v[2:3] offset1:1
	v_perm_b32 v1, v34, v32, s4
	v_perm_b32 v0, v33, v12, s4
	ds_write_b64 v7, v[0:1] offset:16
.LBB0_7:
	s_or_b64 exec, exec, s[0:1]
	v_add_u32_e32 v0, -6, v21
	v_cmp_gt_u16_e64 s[0:1], 6, v21
	v_cndmask_b32_e64 v13, v0, v21, s[0:1]
	v_mul_i32_i24_e32 v1, 36, v13
	v_mul_hi_i32_i24_e32 v0, 36, v13
	v_mov_b32_e32 v11, s3
	v_add_co_u32_e64 v14, s[0:1], s2, v1
	v_addc_co_u32_e64 v15, s[0:1], v11, v0, s[0:1]
	s_waitcnt lgkmcnt(0)
	; wave barrier
	s_waitcnt lgkmcnt(0)
	global_load_dwordx4 v[0:3], v[14:15], off
	global_load_dwordx4 v[4:7], v[14:15], off offset:16
	global_load_dword v37, v[14:15], off offset:32
	ds_read2_b32 v[14:15], v22 offset1:12
	ds_read2_b32 v[18:19], v22 offset0:24 offset1:36
	ds_read2_b32 v[38:39], v22 offset0:48 offset1:60
	;; [unrolled: 1-line block ×4, first 2 shown]
	s_waitcnt lgkmcnt(4)
	v_lshrrev_b32_e32 v20, 16, v15
	s_waitcnt lgkmcnt(3)
	v_lshrrev_b32_e32 v44, 16, v18
	v_lshrrev_b32_e32 v45, 16, v19
	s_waitcnt lgkmcnt(2)
	v_lshrrev_b32_e32 v47, 16, v39
	;; [unrolled: 3-line block ×3, first 2 shown]
	v_lshrrev_b32_e32 v49, 16, v41
	v_lshrrev_b32_e32 v16, 16, v14
	s_movk_i32 s4, 0x3b9c
	s_mov_b32 s5, 0xbb9c
	s_movk_i32 s0, 0x38b4
	s_mov_b32 s1, 0xb8b4
	s_movk_i32 s12, 0x34f2
	s_movk_i32 s13, 0x3a79
	s_waitcnt lgkmcnt(0)
	; wave barrier
	s_waitcnt vmcnt(2) lgkmcnt(0)
	v_mul_f16_sdwa v50, v44, v1 dst_sel:DWORD dst_unused:UNUSED_PAD src0_sel:DWORD src1_sel:WORD_1
	v_mul_f16_sdwa v52, v45, v2 dst_sel:DWORD dst_unused:UNUSED_PAD src0_sel:DWORD src1_sel:WORD_1
	s_waitcnt vmcnt(1)
	v_mul_f16_sdwa v56, v47, v4 dst_sel:DWORD dst_unused:UNUSED_PAD src0_sel:DWORD src1_sel:WORD_1
	v_mul_f16_sdwa v51, v18, v1 dst_sel:DWORD dst_unused:UNUSED_PAD src0_sel:DWORD src1_sel:WORD_1
	;; [unrolled: 1-line block ×4, first 2 shown]
	v_fma_f16 v18, v18, v1, -v50
	v_fma_f16 v19, v19, v2, -v52
	v_mul_f16_sdwa v50, v39, v4 dst_sel:DWORD dst_unused:UNUSED_PAD src0_sel:DWORD src1_sel:WORD_1
	v_mul_f16_sdwa v52, v48, v5 dst_sel:DWORD dst_unused:UNUSED_PAD src0_sel:DWORD src1_sel:WORD_1
	v_fma_f16 v39, v39, v4, -v56
	v_mul_f16_sdwa v56, v49, v6 dst_sel:DWORD dst_unused:UNUSED_PAD src0_sel:DWORD src1_sel:WORD_1
	v_mul_f16_sdwa v55, v38, v3 dst_sel:DWORD dst_unused:UNUSED_PAD src0_sel:DWORD src1_sel:WORD_1
	v_fma_f16 v38, v38, v3, -v54
	v_mul_f16_sdwa v54, v40, v5 dst_sel:DWORD dst_unused:UNUSED_PAD src0_sel:DWORD src1_sel:WORD_1
	v_fma_f16 v40, v40, v5, -v52
	v_fma_f16 v52, v41, v6, -v56
	v_lshrrev_b32_e32 v56, 16, v42
	v_fma_f16 v45, v45, v2, v53
	v_mul_f16_sdwa v53, v15, v0 dst_sel:DWORD dst_unused:UNUSED_PAD src0_sel:DWORD src1_sel:WORD_1
	v_mul_f16_sdwa v41, v41, v6 dst_sel:DWORD dst_unused:UNUSED_PAD src0_sel:DWORD src1_sel:WORD_1
	v_fma_f16 v53, v20, v0, v53
	v_mul_f16_sdwa v20, v20, v0 dst_sel:DWORD dst_unused:UNUSED_PAD src0_sel:DWORD src1_sel:WORD_1
	v_fma_f16 v46, v46, v3, v55
	;; [unrolled: 2-line block ×3, first 2 shown]
	v_lshrrev_b32_e32 v51, 16, v43
	v_fma_f16 v41, v49, v6, v41
	s_waitcnt vmcnt(0)
	v_mul_f16_sdwa v49, v43, v37 dst_sel:DWORD dst_unused:UNUSED_PAD src0_sel:DWORD src1_sel:WORD_1
	v_fma_f16 v15, v15, v0, -v20
	v_fma_f16 v20, v42, v7, -v55
	v_fma_f16 v47, v47, v4, v50
	v_mul_f16_sdwa v50, v42, v7 dst_sel:DWORD dst_unused:UNUSED_PAD src0_sel:DWORD src1_sel:WORD_1
	v_fma_f16 v48, v48, v5, v54
	v_mul_f16_sdwa v54, v51, v37 dst_sel:DWORD dst_unused:UNUSED_PAD src0_sel:DWORD src1_sel:WORD_1
	v_fma_f16 v49, v51, v37, v49
	v_add_f16_e32 v51, v38, v40
	v_add_f16_e32 v55, v18, v20
	v_fma_f16 v42, v56, v7, v50
	v_fma_f16 v43, v43, v37, -v54
	v_add_f16_e32 v50, v14, v18
	v_sub_f16_e32 v54, v18, v38
	v_fma_f16 v51, v51, -0.5, v14
	v_fma_f16 v14, v55, -0.5, v14
	v_sub_f16_e32 v55, v20, v40
	v_sub_f16_e32 v56, v38, v18
	v_add_f16_e32 v54, v54, v55
	v_sub_f16_e32 v55, v40, v20
	v_add_f16_e32 v55, v56, v55
	v_sub_f16_e32 v56, v44, v42
	v_fma_f16 v57, v56, s4, v51
	v_fma_f16 v51, v56, s5, v51
	v_sub_f16_e32 v58, v46, v48
	v_fma_f16 v57, v58, s0, v57
	v_fma_f16 v51, v58, s1, v51
	;; [unrolled: 1-line block ×8, first 2 shown]
	v_add_f16_e32 v50, v50, v38
	v_add_f16_e32 v50, v50, v40
	v_fma_f16 v54, v55, s12, v54
	v_fma_f16 v14, v55, s12, v14
	v_add_f16_e32 v55, v46, v48
	v_add_f16_e32 v50, v50, v20
	v_fma_f16 v55, v55, -0.5, v16
	v_sub_f16_e32 v18, v18, v20
	v_sub_f16_e32 v20, v38, v40
	v_sub_f16_e32 v38, v44, v46
	v_sub_f16_e32 v40, v42, v48
	v_add_f16_e32 v38, v38, v40
	v_fma_f16 v40, v18, s5, v55
	v_fma_f16 v55, v18, s4, v55
	;; [unrolled: 1-line block ×6, first 2 shown]
	v_add_f16_e32 v55, v44, v42
	v_fma_f16 v55, v55, -0.5, v16
	v_add_f16_e32 v16, v16, v44
	v_add_f16_e32 v16, v16, v46
	;; [unrolled: 1-line block ×4, first 2 shown]
	v_sub_f16_e32 v16, v46, v44
	v_fma_f16 v44, v20, s4, v55
	v_sub_f16_e32 v42, v48, v42
	v_fma_f16 v20, v20, s5, v55
	v_fma_f16 v44, v18, s1, v44
	v_add_f16_e32 v16, v16, v42
	v_fma_f16 v18, v18, s0, v20
	v_fma_f16 v42, v16, s12, v44
	;; [unrolled: 1-line block ×3, first 2 shown]
	v_add_f16_e32 v16, v39, v52
	v_fma_f16 v16, v16, -0.5, v15
	v_sub_f16_e32 v20, v45, v49
	v_sub_f16_e32 v46, v19, v39
	;; [unrolled: 1-line block ×3, first 2 shown]
	v_fma_f16 v44, v20, s4, v16
	v_add_f16_e32 v46, v46, v48
	v_sub_f16_e32 v48, v47, v41
	v_fma_f16 v16, v20, s5, v16
	v_fma_f16 v44, v48, s0, v44
	;; [unrolled: 1-line block ×5, first 2 shown]
	v_sub_f16_e32 v16, v39, v19
	v_sub_f16_e32 v55, v52, v43
	v_add_f16_e32 v16, v16, v55
	v_add_f16_e32 v55, v19, v43
	v_fma_f16 v55, v55, -0.5, v15
	v_fma_f16 v58, v48, s5, v55
	v_fma_f16 v48, v48, s4, v55
	v_add_f16_e32 v15, v15, v19
	v_fma_f16 v55, v20, s0, v58
	v_fma_f16 v20, v20, s1, v48
	v_add_f16_e32 v15, v15, v39
	v_add_f16_e32 v15, v15, v52
	v_fma_f16 v48, v16, s12, v55
	v_fma_f16 v20, v16, s12, v20
	v_add_f16_e32 v16, v47, v41
	v_add_f16_e32 v15, v15, v43
	v_fma_f16 v16, v16, -0.5, v53
	v_sub_f16_e32 v19, v19, v43
	v_sub_f16_e32 v39, v39, v52
	;; [unrolled: 1-line block ×4, first 2 shown]
	v_add_f16_e32 v43, v43, v52
	v_fma_f16 v52, v19, s5, v16
	v_fma_f16 v16, v19, s4, v16
	;; [unrolled: 1-line block ×6, first 2 shown]
	v_add_f16_e32 v16, v45, v49
	v_fma_f16 v55, v16, -0.5, v53
	v_add_f16_e32 v16, v53, v45
	v_add_f16_e32 v53, v16, v47
	v_sub_f16_e32 v45, v47, v45
	v_add_f16_e32 v47, v53, v41
	v_add_f16_e32 v47, v47, v49
	v_sub_f16_e32 v41, v41, v49
	v_fma_f16 v49, v39, s4, v55
	v_fma_f16 v49, v19, s1, v49
	v_add_f16_e32 v41, v45, v41
	v_fma_f16 v45, v41, s12, v49
	v_fma_f16 v39, v39, s5, v55
	v_mul_f16_e32 v53, 0x3b9c, v45
	v_fma_f16 v19, v19, s0, v39
	v_fma_f16 v53, v48, s12, v53
	v_mul_f16_e32 v48, 0xbb9c, v48
	;; [unrolled: 3-line block ×3, first 2 shown]
	v_fma_f16 v48, v19, s4, -v48
	v_mul_f16_e32 v19, 0x34f2, v19
	v_fma_f16 v19, v20, s5, -v19
	v_mul_f16_e32 v20, 0x3a79, v46
	v_mul_f16_e32 v41, 0x38b4, v52
	v_fma_f16 v20, v43, s0, -v20
	v_mul_f16_e32 v43, 0x3a79, v43
	v_fma_f16 v41, v44, s13, v41
	v_mul_f16_e32 v44, 0xb8b4, v44
	v_fma_f16 v43, v46, s1, -v43
	v_cmp_lt_u16_e64 s[0:1], 5, v21
	v_add_f16_e32 v39, v50, v15
	v_fma_f16 v44, v52, s13, v44
	v_sub_f16_e32 v15, v50, v15
	v_add_f16_e32 v50, v51, v20
	v_add_f16_e32 v55, v56, v47
	v_sub_f16_e32 v20, v51, v20
	v_add_f16_e32 v51, v18, v19
	v_sub_f16_e32 v47, v56, v47
	;; [unrolled: 2-line block ×3, first 2 shown]
	v_sub_f16_e32 v19, v38, v43
	v_cndmask_b32_e64 v38, 0, 60, s[0:1]
	v_add_f16_e32 v49, v57, v41
	v_add_f16_e32 v52, v54, v53
	v_sub_f16_e32 v53, v54, v53
	v_add_f16_e32 v54, v40, v44
	v_add_u32_e32 v13, v13, v38
	v_add_f16_e32 v46, v14, v48
	v_sub_f16_e32 v14, v14, v48
	v_add_f16_e32 v48, v42, v45
	v_lshl_add_u32 v38, v13, 2, v31
	v_pack_b32_f16 v13, v39, v55
	v_pack_b32_f16 v39, v49, v54
	ds_write2_b32 v38, v13, v39 offset1:6
	v_pack_b32_f16 v13, v52, v48
	v_pack_b32_f16 v39, v46, v51
	v_sub_f16_e32 v41, v57, v41
	v_sub_f16_e32 v40, v40, v44
	;; [unrolled: 1-line block ×3, first 2 shown]
	ds_write2_b32 v38, v13, v39 offset0:12 offset1:18
	v_pack_b32_f16 v13, v50, v56
	v_pack_b32_f16 v15, v15, v47
	ds_write2_b32 v38, v13, v15 offset0:24 offset1:30
	v_pack_b32_f16 v13, v41, v40
	v_pack_b32_f16 v15, v53, v42
	;; [unrolled: 3-line block ×3, first 2 shown]
	ds_write2_b32 v38, v13, v14 offset0:48 offset1:54
	v_add_co_u32_e64 v13, s[0:1], -12, v21
	v_or_b32_e32 v16, 48, v21
	v_addc_co_u32_e64 v14, s[0:1], 0, -1, s[0:1]
	v_cmp_gt_u64_e64 s[0:1], 60, v[16:17]
	v_lshlrev_b32_e32 v15, 2, v21
	v_cndmask_b32_e64 v16, v13, v16, s[0:1]
	v_cndmask_b32_e64 v17, v14, 0, s[0:1]
	v_lshlrev_b64 v[13:14], 2, v[16:17]
	s_waitcnt lgkmcnt(0)
	; wave barrier
	s_waitcnt lgkmcnt(0)
	global_load_dword v42, v15, s[2:3] offset:264
	global_load_dword v40, v15, s[2:3] offset:312
	;; [unrolled: 1-line block ×3, first 2 shown]
	v_add_co_u32_e64 v13, s[0:1], s2, v13
	v_addc_co_u32_e64 v14, s[0:1], v11, v14, s[0:1]
	global_load_dword v41, v[13:14], off offset:216
	global_load_dword v43, v15, s[2:3] offset:216
	ds_read2_b32 v[13:14], v22 offset1:12
	ds_read2_b32 v[17:18], v22 offset0:48 offset1:60
	ds_read2_b32 v[19:20], v22 offset0:72 offset1:84
	;; [unrolled: 1-line block ×4, first 2 shown]
	s_waitcnt lgkmcnt(4)
	v_lshrrev_b32_e32 v48, 16, v13
	s_waitcnt lgkmcnt(3)
	v_lshrrev_b32_e32 v11, 16, v18
	;; [unrolled: 2-line block ×3, first 2 shown]
	v_lshrrev_b32_e32 v51, 16, v20
	s_waitcnt lgkmcnt(1)
	v_lshrrev_b32_e32 v52, 16, v44
	v_lshrrev_b32_e32 v53, 16, v45
	v_lshrrev_b32_e32 v49, 16, v14
	s_waitcnt lgkmcnt(0)
	v_lshrrev_b32_e32 v58, 16, v46
	s_add_u32 s4, s14, 0x1e0
	s_addc_u32 s5, s15, 0
	s_waitcnt vmcnt(4)
	v_mul_f16_sdwa v54, v50, v42 dst_sel:DWORD dst_unused:UNUSED_PAD src0_sel:DWORD src1_sel:WORD_1
	v_fma_f16 v54, v19, v42, -v54
	v_mul_f16_sdwa v19, v19, v42 dst_sel:DWORD dst_unused:UNUSED_PAD src0_sel:DWORD src1_sel:WORD_1
	v_fma_f16 v19, v50, v42, v19
	s_waitcnt vmcnt(3)
	v_mul_f16_sdwa v50, v51, v40 dst_sel:DWORD dst_unused:UNUSED_PAD src0_sel:DWORD src1_sel:WORD_1
	v_fma_f16 v50, v20, v40, -v50
	v_mul_f16_sdwa v20, v20, v40 dst_sel:DWORD dst_unused:UNUSED_PAD src0_sel:DWORD src1_sel:WORD_1
	v_fma_f16 v20, v51, v40, v20
	s_waitcnt vmcnt(2)
	v_mul_f16_sdwa v51, v52, v39 dst_sel:DWORD dst_unused:UNUSED_PAD src0_sel:DWORD src1_sel:WORD_1
	v_fma_f16 v51, v44, v39, -v51
	v_mul_f16_sdwa v44, v44, v39 dst_sel:DWORD dst_unused:UNUSED_PAD src0_sel:DWORD src1_sel:WORD_1
	s_waitcnt vmcnt(0)
	v_mul_f16_sdwa v55, v18, v43 dst_sel:DWORD dst_unused:UNUSED_PAD src0_sel:DWORD src1_sel:WORD_1
	v_fma_f16 v44, v52, v39, v44
	v_mul_f16_sdwa v52, v53, v41 dst_sel:DWORD dst_unused:UNUSED_PAD src0_sel:DWORD src1_sel:WORD_1
	v_fma_f16 v55, v11, v43, v55
	v_mul_f16_sdwa v11, v11, v43 dst_sel:DWORD dst_unused:UNUSED_PAD src0_sel:DWORD src1_sel:WORD_1
	v_fma_f16 v52, v45, v41, -v52
	v_mul_f16_sdwa v45, v45, v41 dst_sel:DWORD dst_unused:UNUSED_PAD src0_sel:DWORD src1_sel:WORD_1
	v_fma_f16 v11, v18, v43, -v11
	v_fma_f16 v18, v53, v41, v45
	v_sub_f16_e32 v53, v13, v11
	v_sub_f16_e32 v54, v14, v54
	;; [unrolled: 1-line block ×3, first 2 shown]
	v_fma_f16 v56, v13, 2.0, -v53
	v_fma_f16 v57, v14, 2.0, -v54
	v_lshrrev_b32_e32 v52, 16, v17
	v_fma_f16 v14, v17, 2.0, -v11
	v_sub_f16_e32 v13, v47, v51
	v_lshrrev_b32_e32 v17, 16, v47
	v_sub_f16_e32 v55, v48, v55
	v_sub_f16_e32 v19, v49, v19
	v_fma_f16 v45, v47, 2.0, -v13
	v_fma_f16 v59, v48, 2.0, -v55
	;; [unrolled: 1-line block ×3, first 2 shown]
	v_sub_f16_e32 v47, v17, v44
	v_sub_f16_e32 v49, v52, v18
	v_pack_b32_f16 v18, v53, v55
	v_sub_f16_e32 v50, v46, v50
	v_sub_f16_e32 v20, v58, v20
	v_fma_f16 v48, v17, 2.0, -v47
	v_pack_b32_f16 v17, v56, v59
	ds_write_b32 v22, v18 offset:240
	v_pack_b32_f16 v18, v57, v60
	v_fma_f16 v51, v46, 2.0, -v50
	v_fma_f16 v58, v58, 2.0, -v20
	ds_write2_b32 v22, v17, v18 offset1:12
	v_pack_b32_f16 v17, v54, v19
	ds_write_b32 v22, v17 offset:288
	v_pack_b32_f16 v17, v51, v58
	v_pack_b32_f16 v19, v45, v48
	v_fma_f16 v46, v52, 2.0, -v49
	v_pack_b32_f16 v18, v50, v20
	ds_write2_b32 v22, v17, v19 offset0:24 offset1:36
	v_pack_b32_f16 v17, v13, v47
	ds_write2_b32 v22, v18, v17 offset0:84 offset1:96
	v_lshl_add_u32 v44, v16, 2, v31
	v_pack_b32_f16 v16, v14, v46
	v_pack_b32_f16 v17, v11, v49
	ds_write2_b32 v44, v16, v17 offset1:60
	s_waitcnt lgkmcnt(0)
	; wave barrier
	s_waitcnt lgkmcnt(0)
	global_load_dword v18, v[8:9], off offset:480
	global_load_dword v20, v15, s[4:5] offset:80
	global_load_dword v50, v15, s[4:5] offset:160
	;; [unrolled: 1-line block ×5, first 2 shown]
	ds_read2_b32 v[16:17], v22 offset1:20
	s_waitcnt lgkmcnt(0)
	v_lshrrev_b32_e32 v19, 16, v16
	s_waitcnt vmcnt(5)
	v_mul_f16_sdwa v54, v19, v18 dst_sel:DWORD dst_unused:UNUSED_PAD src0_sel:DWORD src1_sel:WORD_1
	v_fma_f16 v54, v16, v18, -v54
	v_mul_f16_sdwa v16, v16, v18 dst_sel:DWORD dst_unused:UNUSED_PAD src0_sel:DWORD src1_sel:WORD_1
	v_fma_f16 v16, v19, v18, v16
	v_pack_b32_f16 v16, v54, v16
	v_lshrrev_b32_e32 v54, 16, v17
	s_waitcnt vmcnt(4)
	v_mul_f16_sdwa v18, v54, v20 dst_sel:DWORD dst_unused:UNUSED_PAD src0_sel:DWORD src1_sel:WORD_1
	v_fma_f16 v55, v17, v20, -v18
	ds_read2_b32 v[18:19], v22 offset0:40 offset1:60
	v_mul_f16_sdwa v17, v17, v20 dst_sel:DWORD dst_unused:UNUSED_PAD src0_sel:DWORD src1_sel:WORD_1
	v_fma_f16 v17, v54, v20, v17
	v_pack_b32_f16 v17, v55, v17
	ds_write2_b32 v22, v16, v17 offset1:20
	s_waitcnt lgkmcnt(1)
	v_lshrrev_b32_e32 v16, 16, v18
	s_waitcnt vmcnt(3)
	v_mul_f16_sdwa v17, v16, v50 dst_sel:DWORD dst_unused:UNUSED_PAD src0_sel:DWORD src1_sel:WORD_1
	v_fma_f16 v17, v18, v50, -v17
	v_mul_f16_sdwa v18, v18, v50 dst_sel:DWORD dst_unused:UNUSED_PAD src0_sel:DWORD src1_sel:WORD_1
	v_fma_f16 v16, v16, v50, v18
	v_lshrrev_b32_e32 v20, 16, v19
	v_pack_b32_f16 v18, v17, v16
	s_waitcnt vmcnt(2)
	v_mul_f16_sdwa v16, v20, v51 dst_sel:DWORD dst_unused:UNUSED_PAD src0_sel:DWORD src1_sel:WORD_1
	v_fma_f16 v50, v19, v51, -v16
	ds_read2_b32 v[16:17], v22 offset0:80 offset1:100
	v_mul_f16_sdwa v19, v19, v51 dst_sel:DWORD dst_unused:UNUSED_PAD src0_sel:DWORD src1_sel:WORD_1
	v_fma_f16 v19, v20, v51, v19
	v_pack_b32_f16 v19, v50, v19
	ds_write2_b32 v22, v18, v19 offset0:40 offset1:60
	s_waitcnt lgkmcnt(1)
	v_lshrrev_b32_e32 v18, 16, v16
	s_waitcnt vmcnt(1)
	v_mul_f16_sdwa v19, v18, v52 dst_sel:DWORD dst_unused:UNUSED_PAD src0_sel:DWORD src1_sel:WORD_1
	v_fma_f16 v19, v16, v52, -v19
	v_mul_f16_sdwa v16, v16, v52 dst_sel:DWORD dst_unused:UNUSED_PAD src0_sel:DWORD src1_sel:WORD_1
	v_fma_f16 v16, v18, v52, v16
	v_lshrrev_b32_e32 v18, 16, v17
	v_pack_b32_f16 v16, v19, v16
	s_waitcnt vmcnt(0)
	v_mul_f16_sdwa v19, v18, v53 dst_sel:DWORD dst_unused:UNUSED_PAD src0_sel:DWORD src1_sel:WORD_1
	v_fma_f16 v19, v17, v53, -v19
	v_mul_f16_sdwa v17, v17, v53 dst_sel:DWORD dst_unused:UNUSED_PAD src0_sel:DWORD src1_sel:WORD_1
	v_fma_f16 v17, v18, v53, v17
	v_pack_b32_f16 v17, v19, v17
	ds_write2_b32 v22, v16, v17 offset0:80 offset1:100
	s_and_saveexec_b64 s[2:3], vcc
	s_cbranch_execz .LBB0_9
; %bb.8:
	v_add_co_u32_e64 v15, s[0:1], s4, v15
	v_mov_b32_e32 v16, s5
	v_addc_co_u32_e64 v16, s[0:1], 0, v16, s[0:1]
	global_load_dword v20, v[15:16], off offset:48
	ds_read2_b32 v[17:18], v22 offset0:12 offset1:32
	s_waitcnt lgkmcnt(0)
	v_lshrrev_b32_e32 v19, 16, v17
	s_waitcnt vmcnt(0)
	v_mul_f16_sdwa v50, v19, v20 dst_sel:DWORD dst_unused:UNUSED_PAD src0_sel:DWORD src1_sel:WORD_1
	v_fma_f16 v50, v17, v20, -v50
	v_mul_f16_sdwa v17, v17, v20 dst_sel:DWORD dst_unused:UNUSED_PAD src0_sel:DWORD src1_sel:WORD_1
	v_fma_f16 v17, v19, v20, v17
	global_load_dword v20, v[15:16], off offset:128
	v_lshrrev_b32_e32 v19, 16, v18
	v_pack_b32_f16 v17, v50, v17
	s_waitcnt vmcnt(0)
	v_mul_f16_sdwa v50, v19, v20 dst_sel:DWORD dst_unused:UNUSED_PAD src0_sel:DWORD src1_sel:WORD_1
	v_fma_f16 v50, v18, v20, -v50
	v_mul_f16_sdwa v18, v18, v20 dst_sel:DWORD dst_unused:UNUSED_PAD src0_sel:DWORD src1_sel:WORD_1
	v_fma_f16 v18, v19, v20, v18
	global_load_dword v20, v[15:16], off offset:208
	v_pack_b32_f16 v18, v50, v18
	ds_write2_b32 v22, v17, v18 offset0:12 offset1:32
	ds_read2_b32 v[17:18], v22 offset0:52 offset1:72
	s_waitcnt lgkmcnt(0)
	v_lshrrev_b32_e32 v19, 16, v17
	s_waitcnt vmcnt(0)
	v_mul_f16_sdwa v50, v19, v20 dst_sel:DWORD dst_unused:UNUSED_PAD src0_sel:DWORD src1_sel:WORD_1
	v_fma_f16 v50, v17, v20, -v50
	v_mul_f16_sdwa v17, v17, v20 dst_sel:DWORD dst_unused:UNUSED_PAD src0_sel:DWORD src1_sel:WORD_1
	v_fma_f16 v17, v19, v20, v17
	global_load_dword v20, v[15:16], off offset:288
	v_lshrrev_b32_e32 v19, 16, v18
	v_pack_b32_f16 v17, v50, v17
	s_waitcnt vmcnt(0)
	v_mul_f16_sdwa v50, v19, v20 dst_sel:DWORD dst_unused:UNUSED_PAD src0_sel:DWORD src1_sel:WORD_1
	v_fma_f16 v50, v18, v20, -v50
	v_mul_f16_sdwa v18, v18, v20 dst_sel:DWORD dst_unused:UNUSED_PAD src0_sel:DWORD src1_sel:WORD_1
	v_fma_f16 v18, v19, v20, v18
	global_load_dword v20, v[15:16], off offset:368
	v_pack_b32_f16 v18, v50, v18
	global_load_dword v15, v[15:16], off offset:448
	ds_write2_b32 v22, v17, v18 offset0:52 offset1:72
	ds_read2_b32 v[17:18], v22 offset0:92 offset1:112
	s_waitcnt lgkmcnt(0)
	v_lshrrev_b32_e32 v19, 16, v17
	s_waitcnt vmcnt(1)
	v_mul_f16_sdwa v50, v19, v20 dst_sel:DWORD dst_unused:UNUSED_PAD src0_sel:DWORD src1_sel:WORD_1
	v_fma_f16 v50, v17, v20, -v50
	v_mul_f16_sdwa v17, v17, v20 dst_sel:DWORD dst_unused:UNUSED_PAD src0_sel:DWORD src1_sel:WORD_1
	v_fma_f16 v17, v19, v20, v17
	v_lshrrev_b32_e32 v19, 16, v18
	s_waitcnt vmcnt(0)
	v_mul_f16_sdwa v16, v19, v15 dst_sel:DWORD dst_unused:UNUSED_PAD src0_sel:DWORD src1_sel:WORD_1
	v_fma_f16 v16, v18, v15, -v16
	v_mul_f16_sdwa v18, v18, v15 dst_sel:DWORD dst_unused:UNUSED_PAD src0_sel:DWORD src1_sel:WORD_1
	v_fma_f16 v15, v19, v15, v18
	v_pack_b32_f16 v17, v50, v17
	v_pack_b32_f16 v15, v16, v15
	ds_write2_b32 v22, v17, v15 offset0:92 offset1:112
.LBB0_9:
	s_or_b64 exec, exec, s[2:3]
	s_waitcnt lgkmcnt(0)
	; wave barrier
	s_waitcnt lgkmcnt(0)
	ds_read2_b32 v[15:16], v22 offset1:20
	ds_read2_b32 v[17:18], v22 offset0:40 offset1:60
	ds_read2_b32 v[19:20], v22 offset0:80 offset1:100
	s_and_saveexec_b64 s[0:1], vcc
	s_cbranch_execz .LBB0_11
; %bb.10:
	v_lshl_add_u32 v32, v21, 2, v31
	ds_read_b32 v45, v22 offset:48
	ds_read2_b32 v[13:14], v32 offset0:32 offset1:52
	ds_read2_b32 v[11:12], v32 offset0:72 offset1:92
	ds_read_b32 v32, v32 offset:448
	s_waitcnt lgkmcnt(3)
	v_lshrrev_b32_e32 v48, 16, v45
	s_waitcnt lgkmcnt(2)
	v_lshrrev_b32_e32 v47, 16, v13
	v_lshrrev_b32_e32 v46, 16, v14
	s_waitcnt lgkmcnt(1)
	v_lshrrev_b32_e32 v49, 16, v11
	v_lshrrev_b32_e32 v33, 16, v12
	s_waitcnt lgkmcnt(0)
	v_lshrrev_b32_e32 v34, 16, v32
.LBB0_11:
	s_or_b64 exec, exec, s[0:1]
	s_waitcnt lgkmcnt(0)
	v_pk_add_f16 v55, v17, v19
	v_pk_add_f16 v52, v15, v17
	v_pk_fma_f16 v15, v55, 0.5, v15 op_sel_hi:[1,0,1] neg_lo:[1,0,0] neg_hi:[1,0,0]
	v_pk_add_f16 v17, v17, v19 neg_lo:[0,1] neg_hi:[0,1]
	s_movk_i32 s2, 0x3aee
	v_pk_add_f16 v54, v52, v19
	v_pk_fma_f16 v19, v17, s2, v15 op_sel:[0,0,1] op_sel_hi:[1,0,0] neg_lo:[1,0,0] neg_hi:[1,0,0]
	v_pk_fma_f16 v17, v17, s2, v15 op_sel:[0,0,1] op_sel_hi:[1,0,0]
	v_pk_add_f16 v15, v18, v20
	v_pk_add_f16 v53, v16, v18
	v_pk_fma_f16 v15, v15, 0.5, v16 op_sel_hi:[1,0,1] neg_lo:[1,0,0] neg_hi:[1,0,0]
	v_pk_add_f16 v16, v18, v20 neg_lo:[0,1] neg_hi:[0,1]
	v_pk_fma_f16 v18, v16, s2, v15 op_sel:[0,0,1] op_sel_hi:[1,0,0]
	v_pk_fma_f16 v15, v16, s2, v15 op_sel:[0,0,1] op_sel_hi:[1,0,0] neg_lo:[1,0,0] neg_hi:[1,0,0]
	v_pk_add_f16 v53, v53, v20
	v_lshrrev_b32_e32 v16, 16, v15
	v_mul_f16_e32 v20, 0x3aee, v18
	v_fma_f16 v20, v16, 0.5, -v20
	v_pk_mul_f16 v16, v15, s2 op_sel_hi:[1,0]
	s_mov_b32 s0, 0xb8003800
	v_pk_fma_f16 v56, v18, s0, v16 op_sel:[0,0,1] op_sel_hi:[1,1,0]
	v_pk_fma_f16 v57, v18, s0, v16 op_sel:[0,0,1] op_sel_hi:[1,1,0] neg_lo:[0,0,1] neg_hi:[0,0,1]
	s_mov_b32 s0, 0xffff
	v_bfi_b32 v16, s0, v56, v57
	v_pk_add_f16 v58, v17, v16
	v_lshrrev_b32_e32 v16, 16, v18
	v_mul_f16_e32 v15, -0.5, v15
	v_fma_f16 v18, v16, s2, v15
	v_add_f16_sdwa v55, v19, v20 dst_sel:DWORD dst_unused:UNUSED_PAD src0_sel:WORD_1 src1_sel:DWORD
	v_add_f16_e32 v15, v19, v18
	v_pk_add_f16 v52, v54, v53
	v_pk_add_f16 v16, v54, v53 neg_lo:[0,1] neg_hi:[0,1]
	v_alignbit_b32 v15, v15, v58, 16
	v_pack_b32_f16 v53, v55, v58
	s_waitcnt lgkmcnt(0)
	; wave barrier
	ds_write2_b64 v36, v[52:53], v[15:16] offset1:1
	v_alignbit_b32 v15, v17, v19, 16
	v_pack_b32_f16 v16, v20, v56
	v_pk_add_f16 v15, v15, v16 neg_lo:[0,1] neg_hi:[0,1]
	v_alignbit_b32 v16, v19, v17, 16
	v_alignbit_b32 v17, v18, v57, 16
	v_add_u32_e32 v51, 0x60, v22
	v_add_u32_e32 v50, 0x90, v22
	v_pk_add_f16 v16, v16, v17 neg_lo:[0,1] neg_hi:[0,1]
	ds_write_b64 v36, v[15:16] offset:16
	s_and_saveexec_b64 s[0:1], vcc
	s_cbranch_execz .LBB0_13
; %bb.12:
	v_add_f16_e32 v15, v33, v46
	v_add_f16_e32 v18, v32, v11
	;; [unrolled: 1-line block ×3, first 2 shown]
	v_fma_f16 v15, v15, -0.5, v48
	v_sub_f16_e32 v16, v14, v12
	s_mov_b32 s3, 0xbaee
	v_fma_f16 v18, v18, -0.5, v13
	v_sub_f16_e32 v19, v49, v34
	v_fma_f16 v36, v36, -0.5, v47
	v_sub_f16_e32 v52, v11, v32
	v_fma_f16 v17, v16, s3, v15
	v_fma_f16 v20, v19, s2, v18
	;; [unrolled: 1-line block ×6, first 2 shown]
	v_add_f16_e32 v48, v46, v48
	v_add_f16_e32 v47, v49, v47
	;; [unrolled: 1-line block ×3, first 2 shown]
	v_mul_f16_e32 v54, -0.5, v53
	v_mul_f16_e32 v19, 0.5, v18
	v_add_f16_e32 v48, v33, v48
	v_fma_f16 v49, v49, -0.5, v45
	v_sub_f16_e32 v33, v46, v33
	v_mul_f16_e32 v52, 0xbaee, v53
	v_mul_f16_e32 v18, 0xbaee, v18
	v_add_f16_e32 v14, v14, v45
	v_add_f16_e32 v11, v11, v13
	v_fma_f16 v54, v20, s2, v54
	v_fma_f16 v19, v16, s2, v19
	v_add_f16_e32 v34, v34, v47
	v_fma_f16 v46, v33, s2, v49
	v_fma_f16 v20, v20, -0.5, v52
	v_fma_f16 v33, v33, s3, v49
	v_fma_f16 v16, v16, 0.5, v18
	v_add_f16_e32 v12, v12, v14
	v_add_f16_e32 v11, v32, v11
	v_sub_f16_e32 v55, v17, v54
	v_sub_f16_e32 v36, v15, v19
	;; [unrolled: 1-line block ×6, first 2 shown]
	v_add_f16_e32 v14, v17, v54
	v_add_f16_e32 v15, v15, v19
	;; [unrolled: 1-line block ×6, first 2 shown]
	v_lshl_add_u32 v31, v35, 2, v31
	v_pack_b32_f16 v11, v19, v14
	v_pack_b32_f16 v14, v16, v15
	;; [unrolled: 1-line block ×4, first 2 shown]
	ds_write2_b64 v31, v[13:14], v[11:12] offset1:1
	v_pack_b32_f16 v12, v52, v55
	v_pack_b32_f16 v11, v18, v36
	ds_write_b64 v31, v[11:12] offset:16
.LBB0_13:
	s_or_b64 exec, exec, s[0:1]
	s_waitcnt lgkmcnt(0)
	; wave barrier
	s_waitcnt lgkmcnt(0)
	ds_read2_b32 v[11:12], v22 offset1:12
	ds_read2_b32 v[13:14], v22 offset0:24 offset1:36
	ds_read2_b32 v[15:16], v22 offset0:48 offset1:60
	;; [unrolled: 1-line block ×4, first 2 shown]
	s_waitcnt lgkmcnt(4)
	v_lshrrev_b32_e32 v32, 16, v12
	v_mul_f16_sdwa v49, v0, v32 dst_sel:DWORD dst_unused:UNUSED_PAD src0_sel:WORD_1 src1_sel:DWORD
	s_waitcnt lgkmcnt(3)
	v_lshrrev_b32_e32 v33, 16, v13
	v_fma_f16 v49, v0, v12, v49
	v_mul_f16_sdwa v12, v0, v12 dst_sel:DWORD dst_unused:UNUSED_PAD src0_sel:WORD_1 src1_sel:DWORD
	v_fma_f16 v0, v0, v32, -v12
	v_mul_f16_sdwa v12, v1, v33 dst_sel:DWORD dst_unused:UNUSED_PAD src0_sel:WORD_1 src1_sel:DWORD
	v_lshrrev_b32_e32 v34, 16, v14
	v_fma_f16 v12, v1, v13, v12
	v_mul_f16_sdwa v13, v1, v13 dst_sel:DWORD dst_unused:UNUSED_PAD src0_sel:WORD_1 src1_sel:DWORD
	v_fma_f16 v1, v1, v33, -v13
	v_mul_f16_sdwa v13, v2, v34 dst_sel:DWORD dst_unused:UNUSED_PAD src0_sel:WORD_1 src1_sel:DWORD
	s_waitcnt lgkmcnt(2)
	v_lshrrev_b32_e32 v35, 16, v15
	v_fma_f16 v13, v2, v14, v13
	v_mul_f16_sdwa v14, v2, v14 dst_sel:DWORD dst_unused:UNUSED_PAD src0_sel:WORD_1 src1_sel:DWORD
	v_fma_f16 v2, v2, v34, -v14
	v_mul_f16_sdwa v14, v3, v35 dst_sel:DWORD dst_unused:UNUSED_PAD src0_sel:WORD_1 src1_sel:DWORD
	v_lshrrev_b32_e32 v36, 16, v16
	v_fma_f16 v14, v3, v15, v14
	v_mul_f16_sdwa v15, v3, v15 dst_sel:DWORD dst_unused:UNUSED_PAD src0_sel:WORD_1 src1_sel:DWORD
	v_fma_f16 v3, v3, v35, -v15
	;; [unrolled: 11-line block ×4, first 2 shown]
	v_mul_f16_sdwa v19, v37, v48 dst_sel:DWORD dst_unused:UNUSED_PAD src0_sel:WORD_1 src1_sel:DWORD
	v_add_f16_e32 v33, v14, v16
	v_fma_f16 v19, v37, v20, v19
	v_mul_f16_sdwa v20, v37, v20 dst_sel:DWORD dst_unused:UNUSED_PAD src0_sel:WORD_1 src1_sel:DWORD
	v_fma_f16 v33, v33, -0.5, v11
	v_sub_f16_e32 v34, v1, v7
	s_mov_b32 s0, 0xbb9c
	s_movk_i32 s3, 0x3b9c
	v_fma_f16 v20, v37, v48, -v20
	v_fma_f16 v35, v34, s0, v33
	v_sub_f16_e32 v36, v3, v5
	s_mov_b32 s1, 0xb8b4
	v_sub_f16_e32 v37, v12, v14
	v_sub_f16_e32 v45, v18, v16
	v_fma_f16 v33, v34, s3, v33
	s_movk_i32 s4, 0x38b4
	v_fma_f16 v35, v36, s1, v35
	v_add_f16_e32 v37, v37, v45
	s_movk_i32 s2, 0x34f2
	v_fma_f16 v33, v36, s4, v33
	v_fma_f16 v35, v37, s2, v35
	;; [unrolled: 1-line block ×3, first 2 shown]
	v_add_f16_e32 v37, v12, v18
	v_lshrrev_b32_e32 v31, 16, v11
	v_add_f16_e32 v32, v11, v12
	v_fma_f16 v11, v37, -0.5, v11
	v_add_f16_e32 v32, v32, v14
	v_fma_f16 v37, v36, s3, v11
	v_fma_f16 v11, v36, s0, v11
	v_add_f16_e32 v36, v3, v5
	v_add_f16_e32 v32, v32, v16
	v_sub_f16_e32 v45, v14, v12
	v_sub_f16_e32 v46, v16, v18
	v_fma_f16 v36, v36, -0.5, v31
	v_sub_f16_e32 v12, v12, v18
	v_add_f16_e32 v32, v32, v18
	v_fma_f16 v37, v34, s1, v37
	v_add_f16_e32 v45, v45, v46
	v_fma_f16 v11, v34, s4, v11
	v_fma_f16 v18, v12, s3, v36
	v_sub_f16_e32 v14, v14, v16
	v_fma_f16 v37, v45, s2, v37
	v_fma_f16 v11, v45, s2, v11
	;; [unrolled: 1-line block ×3, first 2 shown]
	v_sub_f16_e32 v18, v1, v3
	v_sub_f16_e32 v45, v7, v5
	v_fma_f16 v36, v12, s0, v36
	v_add_f16_e32 v34, v31, v1
	v_add_f16_e32 v18, v18, v45
	v_fma_f16 v36, v14, s1, v36
	v_add_f16_e32 v34, v34, v3
	v_fma_f16 v16, v18, s2, v16
	v_fma_f16 v18, v18, s2, v36
	v_add_f16_e32 v36, v1, v7
	v_add_f16_e32 v34, v34, v5
	v_fma_f16 v31, v36, -0.5, v31
	v_add_f16_e32 v34, v34, v7
	v_fma_f16 v36, v14, s0, v31
	v_sub_f16_e32 v1, v3, v1
	v_sub_f16_e32 v3, v5, v7
	v_fma_f16 v5, v14, s3, v31
	v_add_f16_e32 v7, v15, v17
	v_fma_f16 v36, v12, s4, v36
	v_add_f16_e32 v1, v1, v3
	v_fma_f16 v5, v12, s1, v5
	v_fma_f16 v7, v7, -0.5, v49
	v_sub_f16_e32 v12, v2, v20
	v_fma_f16 v3, v1, s2, v36
	v_fma_f16 v14, v12, s0, v7
	v_sub_f16_e32 v31, v4, v6
	v_sub_f16_e32 v36, v13, v15
	;; [unrolled: 1-line block ×3, first 2 shown]
	v_fma_f16 v7, v12, s3, v7
	v_fma_f16 v14, v31, s1, v14
	v_add_f16_e32 v36, v36, v45
	v_fma_f16 v7, v31, s4, v7
	v_fma_f16 v14, v36, s2, v14
	;; [unrolled: 1-line block ×3, first 2 shown]
	v_add_f16_e32 v36, v13, v19
	v_fma_f16 v1, v1, s2, v5
	v_add_f16_e32 v5, v49, v13
	v_fma_f16 v36, v36, -0.5, v49
	v_add_f16_e32 v5, v5, v15
	v_fma_f16 v45, v31, s3, v36
	v_fma_f16 v31, v31, s0, v36
	v_add_f16_e32 v36, v4, v6
	v_add_f16_e32 v5, v5, v17
	v_sub_f16_e32 v46, v15, v13
	v_sub_f16_e32 v47, v17, v19
	v_fma_f16 v36, v36, -0.5, v0
	v_sub_f16_e32 v13, v13, v19
	v_add_f16_e32 v5, v5, v19
	v_fma_f16 v45, v12, s1, v45
	v_add_f16_e32 v46, v46, v47
	v_fma_f16 v12, v12, s4, v31
	v_fma_f16 v19, v13, s3, v36
	v_sub_f16_e32 v15, v15, v17
	v_fma_f16 v45, v46, s2, v45
	v_fma_f16 v12, v46, s2, v12
	;; [unrolled: 1-line block ×3, first 2 shown]
	v_sub_f16_e32 v19, v2, v4
	v_sub_f16_e32 v46, v20, v6
	v_fma_f16 v36, v13, s0, v36
	v_add_f16_e32 v19, v19, v46
	v_fma_f16 v36, v15, s1, v36
	v_fma_f16 v17, v19, s2, v17
	;; [unrolled: 1-line block ×3, first 2 shown]
	v_add_f16_e32 v36, v2, v20
	v_add_f16_e32 v31, v0, v2
	v_fma_f16 v0, v36, -0.5, v0
	v_add_f16_e32 v31, v31, v4
	v_fma_f16 v36, v15, s0, v0
	v_sub_f16_e32 v2, v4, v2
	v_sub_f16_e32 v4, v6, v20
	v_fma_f16 v0, v15, s3, v0
	v_fma_f16 v36, v13, s4, v36
	v_add_f16_e32 v2, v2, v4
	v_fma_f16 v0, v13, s1, v0
	v_add_f16_e32 v31, v31, v6
	v_fma_f16 v4, v2, s2, v36
	v_fma_f16 v0, v2, s2, v0
	v_mul_f16_e32 v6, 0xb8b4, v17
	s_movk_i32 s0, 0x3a79
	v_mul_f16_e32 v17, 0x3a79, v17
	v_add_f16_e32 v31, v31, v20
	v_fma_f16 v6, v14, s0, v6
	v_mul_f16_e32 v15, 0xbb9c, v4
	v_mul_f16_e32 v36, 0xbb9c, v0
	s_mov_b32 s0, 0xb4f2
	v_fma_f16 v14, v14, s4, v17
	v_mul_f16_e32 v4, 0x34f2, v4
	v_mul_f16_e32 v0, 0xb4f2, v0
	v_add_f16_e32 v2, v32, v5
	v_add_f16_e32 v13, v35, v6
	v_fma_f16 v15, v45, s2, v15
	v_fma_f16 v36, v12, s0, v36
	v_mul_f16_e32 v47, 0xb8b4, v19
	s_mov_b32 s0, 0xba79
	v_add_f16_e32 v49, v34, v31
	v_add_f16_e32 v17, v16, v14
	v_fma_f16 v4, v45, s3, v4
	v_fma_f16 v0, v12, s3, v0
	v_mul_f16_e32 v19, 0xba79, v19
	v_add_f16_e32 v20, v37, v15
	v_add_f16_e32 v46, v11, v36
	v_fma_f16 v47, v7, s0, v47
	v_add_f16_e32 v45, v3, v4
	v_add_f16_e32 v12, v1, v0
	v_fma_f16 v7, v7, s4, v19
	v_sub_f16_e32 v3, v3, v4
	v_pack_b32_f16 v2, v2, v49
	v_pack_b32_f16 v4, v13, v17
	v_add_f16_e32 v48, v33, v47
	v_add_f16_e32 v19, v18, v7
	v_sub_f16_e32 v5, v32, v5
	v_sub_f16_e32 v31, v34, v31
	s_waitcnt lgkmcnt(0)
	; wave barrier
	ds_write2_b32 v38, v2, v4 offset1:6
	v_pack_b32_f16 v2, v20, v45
	v_pack_b32_f16 v4, v46, v12
	v_sub_f16_e32 v6, v35, v6
	v_sub_f16_e32 v15, v37, v15
	;; [unrolled: 1-line block ×7, first 2 shown]
	ds_write2_b32 v38, v2, v4 offset0:12 offset1:18
	v_pack_b32_f16 v2, v48, v19
	v_pack_b32_f16 v4, v5, v31
	ds_write2_b32 v38, v2, v4 offset0:24 offset1:30
	v_pack_b32_f16 v2, v6, v14
	v_pack_b32_f16 v3, v15, v3
	;; [unrolled: 1-line block ×4, first 2 shown]
	ds_write2_b32 v38, v2, v3 offset0:36 offset1:42
	ds_write2_b32 v38, v0, v1 offset0:48 offset1:54
	s_waitcnt lgkmcnt(0)
	; wave barrier
	s_waitcnt lgkmcnt(0)
	ds_read2_b32 v[0:1], v22 offset1:12
	ds_read2_b32 v[2:3], v22 offset0:48 offset1:60
	ds_read2_b32 v[4:5], v22 offset0:72 offset1:84
	;; [unrolled: 1-line block ×4, first 2 shown]
	s_mov_b32 s12, 0x11111111
	s_waitcnt lgkmcnt(4)
	v_lshrrev_b32_e32 v13, 16, v0
	s_waitcnt lgkmcnt(3)
	v_lshrrev_b32_e32 v14, 16, v3
	v_mul_f16_sdwa v33, v43, v14 dst_sel:DWORD dst_unused:UNUSED_PAD src0_sel:WORD_1 src1_sel:DWORD
	s_waitcnt lgkmcnt(2)
	v_lshrrev_b32_e32 v16, 16, v4
	v_fma_f16 v33, v43, v3, v33
	v_mul_f16_sdwa v3, v43, v3 dst_sel:DWORD dst_unused:UNUSED_PAD src0_sel:WORD_1 src1_sel:DWORD
	v_fma_f16 v3, v43, v14, -v3
	v_mul_f16_sdwa v14, v42, v16 dst_sel:DWORD dst_unused:UNUSED_PAD src0_sel:WORD_1 src1_sel:DWORD
	v_lshrrev_b32_e32 v18, 16, v5
	v_fma_f16 v14, v42, v4, v14
	v_mul_f16_sdwa v4, v42, v4 dst_sel:DWORD dst_unused:UNUSED_PAD src0_sel:WORD_1 src1_sel:DWORD
	v_fma_f16 v4, v42, v16, -v4
	v_mul_f16_sdwa v16, v40, v18 dst_sel:DWORD dst_unused:UNUSED_PAD src0_sel:WORD_1 src1_sel:DWORD
	s_waitcnt lgkmcnt(0)
	v_lshrrev_b32_e32 v20, 16, v11
	v_fma_f16 v16, v40, v5, v16
	v_mul_f16_sdwa v5, v40, v5 dst_sel:DWORD dst_unused:UNUSED_PAD src0_sel:WORD_1 src1_sel:DWORD
	v_fma_f16 v5, v40, v18, -v5
	v_mul_f16_sdwa v18, v39, v20 dst_sel:DWORD dst_unused:UNUSED_PAD src0_sel:WORD_1 src1_sel:DWORD
	v_lshrrev_b32_e32 v32, 16, v12
	v_fma_f16 v18, v39, v11, v18
	v_mul_f16_sdwa v11, v39, v11 dst_sel:DWORD dst_unused:UNUSED_PAD src0_sel:WORD_1 src1_sel:DWORD
	v_fma_f16 v11, v39, v20, -v11
	v_mul_f16_sdwa v20, v41, v32 dst_sel:DWORD dst_unused:UNUSED_PAD src0_sel:WORD_1 src1_sel:DWORD
	v_lshrrev_b32_e32 v15, 16, v1
	v_fma_f16 v20, v41, v12, v20
	v_mul_f16_sdwa v12, v41, v12 dst_sel:DWORD dst_unused:UNUSED_PAD src0_sel:WORD_1 src1_sel:DWORD
	v_fma_f16 v12, v41, v32, -v12
	v_sub_f16_e32 v32, v0, v33
	v_sub_f16_e32 v3, v13, v3
	;; [unrolled: 1-line block ×4, first 2 shown]
	v_lshrrev_b32_e32 v17, 16, v6
	v_lshrrev_b32_e32 v19, 16, v7
	v_fma_f16 v0, v0, 2.0, -v32
	v_fma_f16 v13, v13, 2.0, -v3
	;; [unrolled: 1-line block ×4, first 2 shown]
	v_sub_f16_e32 v16, v6, v16
	v_sub_f16_e32 v5, v17, v5
	;; [unrolled: 1-line block ×4, first 2 shown]
	v_pack_b32_f16 v0, v0, v13
	v_pack_b32_f16 v1, v1, v15
	v_lshrrev_b32_e32 v31, 16, v2
	v_fma_f16 v6, v6, 2.0, -v16
	v_fma_f16 v17, v17, 2.0, -v5
	v_fma_f16 v7, v7, 2.0, -v18
	v_fma_f16 v19, v19, 2.0, -v11
	v_pack_b32_f16 v3, v32, v3
	ds_write2_b32 v22, v0, v1 offset1:12
	v_pack_b32_f16 v0, v14, v4
	v_pack_b32_f16 v1, v16, v5
	v_sub_f16_e32 v20, v2, v20
	v_sub_f16_e32 v12, v31, v12
	ds_write2_b32 v22, v3, v0 offset0:60 offset1:72
	v_pack_b32_f16 v0, v6, v17
	ds_write_b32 v51, v1 offset:240
	v_pack_b32_f16 v1, v7, v19
	v_fma_f16 v2, v2, 2.0, -v20
	v_fma_f16 v31, v31, 2.0, -v12
	ds_write2_b32 v22, v0, v1 offset0:24 offset1:36
	v_pack_b32_f16 v0, v18, v11
	ds_write_b32 v50, v0 offset:240
	v_pack_b32_f16 v0, v2, v31
	v_pack_b32_f16 v1, v20, v12
	ds_write2_b32 v44, v0, v1 offset1:60
	s_waitcnt lgkmcnt(0)
	; wave barrier
	s_waitcnt lgkmcnt(0)
	ds_read2_b32 v[0:1], v22 offset1:20
	s_mov_b32 s13, 0x3f811111
	v_mad_u64_u32 v[3:4], s[0:1], s10, v10, 0
	s_movk_i32 s10, 0x1ff
	s_waitcnt lgkmcnt(0)
	v_lshrrev_b32_e32 v7, 16, v0
	v_mul_f16_sdwa v2, v30, v7 dst_sel:DWORD dst_unused:UNUSED_PAD src0_sel:WORD_1 src1_sel:DWORD
	v_fma_f16 v2, v30, v0, v2
	v_cvt_f32_f16_e32 v2, v2
	v_mul_f16_sdwa v0, v30, v0 dst_sel:DWORD dst_unused:UNUSED_PAD src0_sel:WORD_1 src1_sel:DWORD
	v_fma_f16 v0, v30, v7, -v0
	v_cvt_f32_f16_e32 v0, v0
	v_cvt_f64_f32_e32 v[5:6], v2
	v_mov_b32_e32 v2, v4
	v_mad_u64_u32 v[10:11], s[0:1], s11, v10, v[2:3]
	v_mul_f64 v[5:6], v[5:6], s[12:13]
	s_movk_i32 s11, 0xffe
	v_mov_b32_e32 v4, v10
	s_movk_i32 s14, 0x40f
	s_mov_b32 s15, 0x8000
	v_lshlrev_b64 v[3:4], 2, v[3:4]
	s_mul_hi_u32 s4, s8, 0x50
	s_mul_i32 s5, s8, 0x50
	v_and_or_b32 v2, v6, s10, v5
	v_cmp_ne_u32_e64 s[0:1], 0, v2
	v_cndmask_b32_e64 v2, 0, 1, s[0:1]
	v_lshrrev_b32_e32 v5, 8, v6
	v_bfe_u32 v10, v6, 20, 11
	v_and_or_b32 v5, v5, s11, v2
	v_sub_u32_e32 v11, 0x3f1, v10
	v_or_b32_e32 v2, 0x1000, v5
	v_med3_i32 v11, v11, 0, 13
	v_lshrrev_b32_e32 v12, v11, v2
	v_lshlrev_b32_e32 v11, v11, v12
	v_cmp_ne_u32_e64 s[0:1], v11, v2
	v_cndmask_b32_e64 v2, 0, 1, s[0:1]
	v_or_b32_e32 v2, v12, v2
	v_add_u32_e32 v12, 0xfffffc10, v10
	v_lshl_or_b32 v10, v12, 12, v5
	v_cmp_gt_i32_e64 s[0:1], 1, v12
	v_cndmask_b32_e64 v2, v10, v2, s[0:1]
	v_and_b32_e32 v10, 7, v2
	v_cmp_lt_i32_e64 s[0:1], 5, v10
	v_cmp_eq_u32_e64 s[2:3], 3, v10
	v_cvt_f64_f32_e32 v[10:11], v0
	v_lshrrev_b32_e32 v2, 2, v2
	s_or_b64 s[0:1], s[2:3], s[0:1]
	v_addc_co_u32_e64 v7, s[0:1], 0, v2, s[0:1]
	v_mul_f64 v[10:11], v[10:11], s[12:13]
	v_mov_b32_e32 v2, 0x7c00
	v_cmp_gt_i32_e64 s[0:1], 31, v12
	v_cndmask_b32_e64 v0, v2, v7, s[0:1]
	v_cmp_ne_u32_e64 s[0:1], 0, v5
	v_cndmask_b32_e64 v5, 0, 1, s[0:1]
	v_lshl_or_b32 v5, v5, 9, v2
	v_cmp_eq_u32_e64 s[0:1], s14, v12
	v_cndmask_b32_e64 v0, v0, v5, s[0:1]
	v_lshrrev_b32_e32 v5, 16, v6
	v_and_or_b32 v12, v5, s15, v0
	v_and_or_b32 v0, v11, s10, v10
	v_cmp_ne_u32_e64 s[0:1], 0, v0
	v_cndmask_b32_e64 v0, 0, 1, s[0:1]
	v_lshrrev_b32_e32 v5, 8, v11
	v_bfe_u32 v6, v11, 20, 11
	v_and_or_b32 v0, v5, s11, v0
	v_sub_u32_e32 v7, 0x3f1, v6
	v_or_b32_e32 v5, 0x1000, v0
	v_med3_i32 v7, v7, 0, 13
	v_lshrrev_b32_e32 v10, v7, v5
	v_lshlrev_b32_e32 v7, v7, v10
	v_cmp_ne_u32_e64 s[0:1], v7, v5
	v_cndmask_b32_e64 v5, 0, 1, s[0:1]
	v_add_u32_e32 v7, 0xfffffc10, v6
	v_or_b32_e32 v5, v10, v5
	v_lshl_or_b32 v6, v7, 12, v0
	v_cmp_gt_i32_e64 s[0:1], 1, v7
	v_cndmask_b32_e64 v5, v6, v5, s[0:1]
	v_and_b32_e32 v6, 7, v5
	v_cmp_lt_i32_e64 s[0:1], 5, v6
	v_cmp_eq_u32_e64 s[2:3], 3, v6
	v_lshrrev_b32_e32 v5, 2, v5
	s_or_b64 s[0:1], s[2:3], s[0:1]
	v_addc_co_u32_e64 v5, s[0:1], 0, v5, s[0:1]
	v_cmp_gt_i32_e64 s[0:1], 31, v7
	v_cndmask_b32_e64 v10, v2, v5, s[0:1]
	v_cmp_ne_u32_e64 s[0:1], 0, v0
	v_cndmask_b32_e64 v0, 0, 1, s[0:1]
	v_mad_u64_u32 v[5:6], s[0:1], s8, v21, 0
	v_lshl_or_b32 v0, v0, 9, v2
	v_cmp_eq_u32_e64 s[0:1], s14, v7
	v_cndmask_b32_e64 v10, v10, v0, s[0:1]
	v_mov_b32_e32 v0, v6
	v_mad_u64_u32 v[6:7], s[0:1], s9, v21, v[0:1]
	v_lshrrev_b32_e32 v0, 16, v1
	v_mul_f16_sdwa v7, v29, v0 dst_sel:DWORD dst_unused:UNUSED_PAD src0_sel:WORD_1 src1_sel:DWORD
	v_fma_f16 v7, v29, v1, v7
	v_cvt_f32_f16_e32 v7, v7
	v_lshrrev_b32_e32 v11, 16, v11
	v_and_or_b32 v13, v11, s15, v10
	v_and_b32_e32 v12, 0xffff, v12
	v_cvt_f64_f32_e32 v[10:11], v7
	v_lshl_or_b32 v7, v13, 16, v12
	v_mov_b32_e32 v12, s7
	v_add_co_u32_e64 v3, s[0:1], s6, v3
	v_mul_f64 v[10:11], v[10:11], s[12:13]
	v_lshlrev_b64 v[5:6], 2, v[5:6]
	v_addc_co_u32_e64 v4, s[0:1], v12, v4, s[0:1]
	v_add_co_u32_e64 v5, s[0:1], v3, v5
	v_addc_co_u32_e64 v6, s[0:1], v4, v6, s[0:1]
	global_store_dword v[5:6], v7, off
	v_and_or_b32 v7, v11, s10, v10
	v_mul_f16_sdwa v1, v29, v1 dst_sel:DWORD dst_unused:UNUSED_PAD src0_sel:WORD_1 src1_sel:DWORD
	v_cmp_ne_u32_e64 s[0:1], 0, v7
	v_fma_f16 v0, v29, v0, -v1
	v_cndmask_b32_e64 v7, 0, 1, s[0:1]
	v_lshrrev_b32_e32 v10, 8, v11
	v_bfe_u32 v12, v11, 20, 11
	v_cvt_f32_f16_e32 v0, v0
	v_and_or_b32 v7, v10, s11, v7
	v_sub_u32_e32 v13, 0x3f1, v12
	v_or_b32_e32 v10, 0x1000, v7
	v_med3_i32 v13, v13, 0, 13
	v_lshrrev_b32_e32 v14, v13, v10
	v_lshlrev_b32_e32 v13, v13, v14
	v_cvt_f64_f32_e32 v[0:1], v0
	v_cmp_ne_u32_e64 s[0:1], v13, v10
	v_cndmask_b32_e64 v10, 0, 1, s[0:1]
	v_add_u32_e32 v12, 0xfffffc10, v12
	v_or_b32_e32 v10, v14, v10
	v_lshl_or_b32 v13, v12, 12, v7
	v_cmp_gt_i32_e64 s[0:1], 1, v12
	v_cndmask_b32_e64 v10, v13, v10, s[0:1]
	v_mul_f64 v[0:1], v[0:1], s[12:13]
	v_and_b32_e32 v13, 7, v10
	v_cmp_lt_i32_e64 s[0:1], 5, v13
	v_cmp_eq_u32_e64 s[2:3], 3, v13
	v_lshrrev_b32_e32 v10, 2, v10
	s_or_b64 s[0:1], s[2:3], s[0:1]
	v_addc_co_u32_e64 v10, s[0:1], 0, v10, s[0:1]
	v_cmp_gt_i32_e64 s[0:1], 31, v12
	v_cndmask_b32_e64 v10, v2, v10, s[0:1]
	v_cmp_ne_u32_e64 s[0:1], 0, v7
	v_cndmask_b32_e64 v7, 0, 1, s[0:1]
	v_lshl_or_b32 v7, v7, 9, v2
	v_cmp_eq_u32_e64 s[0:1], s14, v12
	v_and_or_b32 v0, v1, s10, v0
	v_cndmask_b32_e64 v7, v10, v7, s[0:1]
	v_lshrrev_b32_e32 v10, 16, v11
	v_cmp_ne_u32_e64 s[0:1], 0, v0
	v_and_or_b32 v7, v10, s15, v7
	v_cndmask_b32_e64 v0, 0, 1, s[0:1]
	v_lshrrev_b32_e32 v10, 8, v1
	v_bfe_u32 v11, v1, 20, 11
	v_and_or_b32 v0, v10, s11, v0
	v_sub_u32_e32 v12, 0x3f1, v11
	v_or_b32_e32 v10, 0x1000, v0
	v_med3_i32 v12, v12, 0, 13
	v_lshrrev_b32_e32 v13, v12, v10
	v_lshlrev_b32_e32 v12, v12, v13
	v_cmp_ne_u32_e64 s[0:1], v12, v10
	v_cndmask_b32_e64 v10, 0, 1, s[0:1]
	v_add_u32_e32 v12, 0xfffffc10, v11
	v_or_b32_e32 v10, v13, v10
	v_lshl_or_b32 v11, v12, 12, v0
	v_cmp_gt_i32_e64 s[0:1], 1, v12
	v_cndmask_b32_e64 v10, v11, v10, s[0:1]
	v_and_b32_e32 v11, 7, v10
	v_cmp_lt_i32_e64 s[0:1], 5, v11
	v_cmp_eq_u32_e64 s[2:3], 3, v11
	v_lshrrev_b32_e32 v10, 2, v10
	s_or_b64 s[0:1], s[2:3], s[0:1]
	v_addc_co_u32_e64 v10, s[0:1], 0, v10, s[0:1]
	v_cmp_gt_i32_e64 s[0:1], 31, v12
	v_cndmask_b32_e64 v13, v2, v10, s[0:1]
	ds_read2_b32 v[10:11], v22 offset0:40 offset1:60
	v_cmp_ne_u32_e64 s[0:1], 0, v0
	v_cndmask_b32_e64 v0, 0, 1, s[0:1]
	v_lshl_or_b32 v0, v0, 9, v2
	v_cmp_eq_u32_e64 s[0:1], s14, v12
	s_waitcnt lgkmcnt(0)
	v_lshrrev_b32_e32 v12, 16, v10
	v_cndmask_b32_e64 v0, v13, v0, s[0:1]
	v_mul_f16_sdwa v13, v28, v12 dst_sel:DWORD dst_unused:UNUSED_PAD src0_sel:WORD_1 src1_sel:DWORD
	v_fma_f16 v13, v28, v10, v13
	v_cvt_f32_f16_e32 v13, v13
	v_lshrrev_b32_e32 v1, 16, v1
	v_and_or_b32 v0, v1, s15, v0
	v_and_b32_e32 v1, 0xffff, v7
	v_lshl_or_b32 v7, v0, 16, v1
	v_cvt_f64_f32_e32 v[0:1], v13
	s_mul_i32 s0, s9, 0x50
	s_add_i32 s4, s4, s0
	v_mov_b32_e32 v13, s4
	v_mul_f64 v[0:1], v[0:1], s[12:13]
	v_add_co_u32_e64 v5, s[0:1], s5, v5
	v_addc_co_u32_e64 v6, s[0:1], v6, v13, s[0:1]
	global_store_dword v[5:6], v7, off
	v_mul_f16_sdwa v10, v28, v10 dst_sel:DWORD dst_unused:UNUSED_PAD src0_sel:WORD_1 src1_sel:DWORD
	v_fma_f16 v10, v28, v12, -v10
	v_and_or_b32 v0, v1, s10, v0
	v_cmp_ne_u32_e64 s[0:1], 0, v0
	v_cndmask_b32_e64 v0, 0, 1, s[0:1]
	v_lshrrev_b32_e32 v7, 8, v1
	v_bfe_u32 v13, v1, 20, 11
	v_and_or_b32 v0, v7, s11, v0
	v_sub_u32_e32 v14, 0x3f1, v13
	v_or_b32_e32 v7, 0x1000, v0
	v_med3_i32 v14, v14, 0, 13
	v_lshrrev_b32_e32 v15, v14, v7
	v_lshlrev_b32_e32 v14, v14, v15
	v_cmp_ne_u32_e64 s[0:1], v14, v7
	v_cndmask_b32_e64 v7, 0, 1, s[0:1]
	v_add_u32_e32 v14, 0xfffffc10, v13
	v_cvt_f32_f16_e32 v10, v10
	v_or_b32_e32 v7, v15, v7
	v_lshl_or_b32 v13, v14, 12, v0
	v_cmp_gt_i32_e64 s[0:1], 1, v14
	v_cndmask_b32_e64 v7, v13, v7, s[0:1]
	v_and_b32_e32 v13, 7, v7
	v_cmp_lt_i32_e64 s[0:1], 5, v13
	v_cmp_eq_u32_e64 s[2:3], 3, v13
	v_cvt_f64_f32_e32 v[12:13], v10
	v_lshrrev_b32_e32 v7, 2, v7
	s_or_b64 s[0:1], s[2:3], s[0:1]
	v_addc_co_u32_e64 v7, s[0:1], 0, v7, s[0:1]
	v_mul_f64 v[12:13], v[12:13], s[12:13]
	v_cmp_gt_i32_e64 s[0:1], 31, v14
	v_cndmask_b32_e64 v7, v2, v7, s[0:1]
	v_cmp_ne_u32_e64 s[0:1], 0, v0
	v_cndmask_b32_e64 v0, 0, 1, s[0:1]
	v_lshl_or_b32 v0, v0, 9, v2
	v_cmp_eq_u32_e64 s[0:1], s14, v14
	v_cndmask_b32_e64 v0, v7, v0, s[0:1]
	v_lshrrev_b32_e32 v1, 16, v1
	v_and_or_b32 v7, v1, s15, v0
	v_and_or_b32 v0, v13, s10, v12
	v_cmp_ne_u32_e64 s[0:1], 0, v0
	v_cndmask_b32_e64 v0, 0, 1, s[0:1]
	v_lshrrev_b32_e32 v1, 8, v13
	v_bfe_u32 v10, v13, 20, 11
	v_and_or_b32 v0, v1, s11, v0
	v_sub_u32_e32 v12, 0x3f1, v10
	v_or_b32_e32 v1, 0x1000, v0
	v_med3_i32 v12, v12, 0, 13
	v_lshrrev_b32_e32 v14, v12, v1
	v_lshlrev_b32_e32 v12, v12, v14
	v_cmp_ne_u32_e64 s[0:1], v12, v1
	v_cndmask_b32_e64 v1, 0, 1, s[0:1]
	v_add_u32_e32 v10, 0xfffffc10, v10
	v_or_b32_e32 v1, v14, v1
	v_lshl_or_b32 v12, v10, 12, v0
	v_cmp_gt_i32_e64 s[0:1], 1, v10
	v_cndmask_b32_e64 v1, v12, v1, s[0:1]
	v_and_b32_e32 v12, 7, v1
	v_cmp_lt_i32_e64 s[0:1], 5, v12
	v_cmp_eq_u32_e64 s[2:3], 3, v12
	v_lshrrev_b32_e32 v12, 16, v11
	v_lshrrev_b32_e32 v1, 2, v1
	s_or_b64 s[0:1], s[2:3], s[0:1]
	v_mul_f16_sdwa v14, v27, v12 dst_sel:DWORD dst_unused:UNUSED_PAD src0_sel:WORD_1 src1_sel:DWORD
	v_addc_co_u32_e64 v1, s[0:1], 0, v1, s[0:1]
	v_fma_f16 v14, v27, v11, v14
	v_cmp_gt_i32_e64 s[0:1], 31, v10
	v_cvt_f32_f16_e32 v14, v14
	v_cndmask_b32_e64 v1, v2, v1, s[0:1]
	v_cmp_ne_u32_e64 s[0:1], 0, v0
	v_cndmask_b32_e64 v0, 0, 1, s[0:1]
	v_lshl_or_b32 v0, v0, 9, v2
	v_cmp_eq_u32_e64 s[0:1], s14, v10
	v_cndmask_b32_e64 v10, v1, v0, s[0:1]
	v_cvt_f64_f32_e32 v[0:1], v14
	v_lshrrev_b32_e32 v13, 16, v13
	v_and_or_b32 v10, v13, s15, v10
	v_and_b32_e32 v7, 0xffff, v7
	v_mul_f64 v[0:1], v[0:1], s[12:13]
	v_lshl_or_b32 v7, v10, 16, v7
	v_mov_b32_e32 v10, s4
	v_add_co_u32_e64 v5, s[0:1], s5, v5
	v_addc_co_u32_e64 v6, s[0:1], v6, v10, s[0:1]
	global_store_dword v[5:6], v7, off
	v_and_or_b32 v0, v1, s10, v0
	v_cmp_ne_u32_e64 s[0:1], 0, v0
	v_cndmask_b32_e64 v0, 0, 1, s[0:1]
	v_lshrrev_b32_e32 v7, 8, v1
	v_bfe_u32 v10, v1, 20, 11
	v_and_or_b32 v0, v7, s11, v0
	v_sub_u32_e32 v13, 0x3f1, v10
	v_or_b32_e32 v7, 0x1000, v0
	v_med3_i32 v13, v13, 0, 13
	v_lshrrev_b32_e32 v14, v13, v7
	v_lshlrev_b32_e32 v13, v13, v14
	v_mul_f16_sdwa v11, v27, v11 dst_sel:DWORD dst_unused:UNUSED_PAD src0_sel:WORD_1 src1_sel:DWORD
	v_cmp_ne_u32_e64 s[0:1], v13, v7
	v_fma_f16 v11, v27, v12, -v11
	v_cndmask_b32_e64 v7, 0, 1, s[0:1]
	v_add_u32_e32 v13, 0xfffffc10, v10
	v_cvt_f32_f16_e32 v11, v11
	v_or_b32_e32 v7, v14, v7
	v_lshl_or_b32 v10, v13, 12, v0
	v_cmp_gt_i32_e64 s[0:1], 1, v13
	v_cndmask_b32_e64 v7, v10, v7, s[0:1]
	v_and_b32_e32 v10, 7, v7
	v_cmp_lt_i32_e64 s[0:1], 5, v10
	v_cmp_eq_u32_e64 s[2:3], 3, v10
	v_cvt_f64_f32_e32 v[10:11], v11
	v_lshrrev_b32_e32 v7, 2, v7
	s_or_b64 s[0:1], s[2:3], s[0:1]
	v_addc_co_u32_e64 v7, s[0:1], 0, v7, s[0:1]
	v_mul_f64 v[10:11], v[10:11], s[12:13]
	v_cmp_gt_i32_e64 s[0:1], 31, v13
	v_cndmask_b32_e64 v7, v2, v7, s[0:1]
	v_cmp_ne_u32_e64 s[0:1], 0, v0
	v_cndmask_b32_e64 v0, 0, 1, s[0:1]
	v_lshl_or_b32 v0, v0, 9, v2
	v_cmp_eq_u32_e64 s[0:1], s14, v13
	v_cndmask_b32_e64 v0, v7, v0, s[0:1]
	v_lshrrev_b32_e32 v1, 16, v1
	v_and_or_b32 v7, v1, s15, v0
	v_and_or_b32 v0, v11, s10, v10
	v_cmp_ne_u32_e64 s[0:1], 0, v0
	v_cndmask_b32_e64 v0, 0, 1, s[0:1]
	v_lshrrev_b32_e32 v1, 8, v11
	v_and_or_b32 v10, v1, s11, v0
	v_bfe_u32 v1, v11, 20, 11
	v_sub_u32_e32 v12, 0x3f1, v1
	v_or_b32_e32 v0, 0x1000, v10
	v_med3_i32 v12, v12, 0, 13
	v_lshrrev_b32_e32 v13, v12, v0
	v_lshlrev_b32_e32 v12, v12, v13
	v_cmp_ne_u32_e64 s[0:1], v12, v0
	v_cndmask_b32_e64 v0, 0, 1, s[0:1]
	v_add_u32_e32 v12, 0xfffffc10, v1
	v_or_b32_e32 v0, v13, v0
	v_lshl_or_b32 v1, v12, 12, v10
	v_cmp_gt_i32_e64 s[0:1], 1, v12
	v_cndmask_b32_e64 v0, v1, v0, s[0:1]
	v_and_b32_e32 v1, 7, v0
	v_cmp_lt_i32_e64 s[0:1], 5, v1
	v_cmp_eq_u32_e64 s[2:3], 3, v1
	v_lshrrev_b32_e32 v0, 2, v0
	s_or_b64 s[0:1], s[2:3], s[0:1]
	v_addc_co_u32_e64 v13, s[0:1], 0, v0, s[0:1]
	ds_read2_b32 v[0:1], v22 offset0:80 offset1:100
	v_cmp_gt_i32_e64 s[0:1], 31, v12
	v_cndmask_b32_e64 v13, v2, v13, s[0:1]
	v_cmp_ne_u32_e64 s[0:1], 0, v10
	v_cndmask_b32_e64 v10, 0, 1, s[0:1]
	s_waitcnt lgkmcnt(0)
	v_lshrrev_b32_e32 v14, 16, v0
	v_mul_f16_sdwa v15, v26, v14 dst_sel:DWORD dst_unused:UNUSED_PAD src0_sel:WORD_1 src1_sel:DWORD
	v_fma_f16 v15, v26, v0, v15
	v_cvt_f32_f16_e32 v15, v15
	v_lshl_or_b32 v10, v10, 9, v2
	v_cmp_eq_u32_e64 s[0:1], s14, v12
	v_cndmask_b32_e64 v10, v13, v10, s[0:1]
	v_cvt_f64_f32_e32 v[12:13], v15
	v_lshrrev_b32_e32 v11, 16, v11
	v_and_or_b32 v15, v11, s15, v10
	v_and_b32_e32 v7, 0xffff, v7
	v_mul_f64 v[10:11], v[12:13], s[12:13]
	v_mov_b32_e32 v12, s4
	v_add_co_u32_e64 v5, s[0:1], s5, v5
	v_lshl_or_b32 v7, v15, 16, v7
	v_addc_co_u32_e64 v6, s[0:1], v6, v12, s[0:1]
	global_store_dword v[5:6], v7, off
	v_and_or_b32 v7, v11, s10, v10
	v_cmp_ne_u32_e64 s[0:1], 0, v7
	v_cndmask_b32_e64 v7, 0, 1, s[0:1]
	v_lshrrev_b32_e32 v10, 8, v11
	v_bfe_u32 v12, v11, 20, 11
	v_and_or_b32 v7, v10, s11, v7
	v_sub_u32_e32 v13, 0x3f1, v12
	v_or_b32_e32 v10, 0x1000, v7
	v_med3_i32 v13, v13, 0, 13
	v_lshrrev_b32_e32 v15, v13, v10
	v_lshlrev_b32_e32 v13, v13, v15
	v_cmp_ne_u32_e64 s[0:1], v13, v10
	v_mul_f16_sdwa v0, v26, v0 dst_sel:DWORD dst_unused:UNUSED_PAD src0_sel:WORD_1 src1_sel:DWORD
	v_cndmask_b32_e64 v10, 0, 1, s[0:1]
	v_fma_f16 v0, v26, v14, -v0
	v_or_b32_e32 v10, v15, v10
	v_add_u32_e32 v15, 0xfffffc10, v12
	v_cvt_f32_f16_e32 v0, v0
	v_lshl_or_b32 v12, v15, 12, v7
	v_cmp_gt_i32_e64 s[0:1], 1, v15
	v_cndmask_b32_e64 v10, v12, v10, s[0:1]
	v_and_b32_e32 v12, 7, v10
	v_cmp_lt_i32_e64 s[0:1], 5, v12
	v_cmp_eq_u32_e64 s[2:3], 3, v12
	v_cvt_f64_f32_e32 v[12:13], v0
	v_lshrrev_b32_e32 v10, 2, v10
	s_or_b64 s[0:1], s[2:3], s[0:1]
	v_addc_co_u32_e64 v0, s[0:1], 0, v10, s[0:1]
	v_mul_f64 v[12:13], v[12:13], s[12:13]
	v_cmp_gt_i32_e64 s[0:1], 31, v15
	v_cndmask_b32_e64 v0, v2, v0, s[0:1]
	v_cmp_ne_u32_e64 s[0:1], 0, v7
	v_cndmask_b32_e64 v7, 0, 1, s[0:1]
	v_lshl_or_b32 v7, v7, 9, v2
	v_cmp_eq_u32_e64 s[0:1], s14, v15
	v_cndmask_b32_e64 v0, v0, v7, s[0:1]
	v_lshrrev_b32_e32 v7, 16, v11
	v_and_or_b32 v7, v7, s15, v0
	v_and_or_b32 v0, v13, s10, v12
	v_cmp_ne_u32_e64 s[0:1], 0, v0
	v_cndmask_b32_e64 v0, 0, 1, s[0:1]
	v_lshrrev_b32_e32 v10, 8, v13
	v_bfe_u32 v11, v13, 20, 11
	v_and_or_b32 v0, v10, s11, v0
	v_sub_u32_e32 v12, 0x3f1, v11
	v_or_b32_e32 v10, 0x1000, v0
	v_med3_i32 v12, v12, 0, 13
	v_lshrrev_b32_e32 v14, v12, v10
	v_lshlrev_b32_e32 v12, v12, v14
	v_cmp_ne_u32_e64 s[0:1], v12, v10
	v_cndmask_b32_e64 v10, 0, 1, s[0:1]
	v_add_u32_e32 v12, 0xfffffc10, v11
	v_or_b32_e32 v10, v14, v10
	v_lshl_or_b32 v11, v12, 12, v0
	v_cmp_gt_i32_e64 s[0:1], 1, v12
	v_cndmask_b32_e64 v10, v11, v10, s[0:1]
	v_and_b32_e32 v11, 7, v10
	v_cmp_lt_i32_e64 s[0:1], 5, v11
	v_cmp_eq_u32_e64 s[2:3], 3, v11
	v_lshrrev_b32_e32 v10, 2, v10
	s_or_b64 s[0:1], s[2:3], s[0:1]
	v_addc_co_u32_e64 v10, s[0:1], 0, v10, s[0:1]
	v_cmp_gt_i32_e64 s[0:1], 31, v12
	v_cndmask_b32_e64 v14, v2, v10, s[0:1]
	v_cmp_ne_u32_e64 s[0:1], 0, v0
	v_cndmask_b32_e64 v0, 0, 1, s[0:1]
	v_mad_u64_u32 v[10:11], s[0:1], s8, v25, 0
	v_lshl_or_b32 v0, v0, 9, v2
	v_cmp_eq_u32_e64 s[0:1], s14, v12
	v_lshrrev_b32_e32 v15, 16, v1
	v_cndmask_b32_e64 v14, v14, v0, s[0:1]
	v_mov_b32_e32 v0, v11
	v_mul_f16_sdwa v11, v24, v15 dst_sel:DWORD dst_unused:UNUSED_PAD src0_sel:WORD_1 src1_sel:DWORD
	v_fma_f16 v11, v24, v1, v11
	v_cvt_f32_f16_e32 v16, v11
	v_mad_u64_u32 v[11:12], s[0:1], s9, v25, v[0:1]
	v_lshrrev_b32_e32 v0, 16, v13
	v_cvt_f64_f32_e32 v[12:13], v16
	v_lshlrev_b64 v[10:11], 2, v[10:11]
	v_and_or_b32 v0, v0, s15, v14
	v_and_b32_e32 v7, 0xffff, v7
	v_mul_f64 v[12:13], v[12:13], s[12:13]
	v_add_co_u32_e64 v10, s[0:1], v3, v10
	v_lshl_or_b32 v0, v0, 16, v7
	v_addc_co_u32_e64 v11, s[0:1], v4, v11, s[0:1]
	global_store_dword v[10:11], v0, off
	v_mul_f16_sdwa v1, v24, v1 dst_sel:DWORD dst_unused:UNUSED_PAD src0_sel:WORD_1 src1_sel:DWORD
	v_and_or_b32 v0, v13, s10, v12
	v_cmp_ne_u32_e64 s[0:1], 0, v0
	v_cndmask_b32_e64 v0, 0, 1, s[0:1]
	v_lshrrev_b32_e32 v7, 8, v13
	v_bfe_u32 v10, v13, 20, 11
	v_and_or_b32 v7, v7, s11, v0
	v_sub_u32_e32 v11, 0x3f1, v10
	v_or_b32_e32 v0, 0x1000, v7
	v_med3_i32 v11, v11, 0, 13
	v_lshrrev_b32_e32 v12, v11, v0
	v_lshlrev_b32_e32 v11, v11, v12
	v_cmp_ne_u32_e64 s[0:1], v11, v0
	v_fma_f16 v1, v24, v15, -v1
	v_cndmask_b32_e64 v0, 0, 1, s[0:1]
	v_add_u32_e32 v10, 0xfffffc10, v10
	v_cvt_f32_f16_e32 v1, v1
	v_or_b32_e32 v0, v12, v0
	v_lshl_or_b32 v11, v10, 12, v7
	v_cmp_gt_i32_e64 s[0:1], 1, v10
	v_cndmask_b32_e64 v0, v11, v0, s[0:1]
	v_and_b32_e32 v11, 7, v0
	v_cmp_lt_i32_e64 s[0:1], 5, v11
	v_cmp_eq_u32_e64 s[2:3], 3, v11
	v_lshrrev_b32_e32 v11, 2, v0
	v_cvt_f64_f32_e32 v[0:1], v1
	s_or_b64 s[0:1], s[2:3], s[0:1]
	v_addc_co_u32_e64 v11, s[0:1], 0, v11, s[0:1]
	v_mul_f64 v[0:1], v[0:1], s[12:13]
	v_cmp_gt_i32_e64 s[0:1], 31, v10
	v_cndmask_b32_e64 v11, v2, v11, s[0:1]
	v_cmp_ne_u32_e64 s[0:1], 0, v7
	v_cndmask_b32_e64 v7, 0, 1, s[0:1]
	v_lshl_or_b32 v7, v7, 9, v2
	v_cmp_eq_u32_e64 s[0:1], s14, v10
	v_cndmask_b32_e64 v7, v11, v7, s[0:1]
	v_and_or_b32 v0, v1, s10, v0
	v_lshrrev_b32_e32 v10, 16, v13
	v_cmp_ne_u32_e64 s[0:1], 0, v0
	v_and_or_b32 v7, v10, s15, v7
	v_cndmask_b32_e64 v0, 0, 1, s[0:1]
	v_lshrrev_b32_e32 v10, 8, v1
	v_bfe_u32 v11, v1, 20, 11
	v_and_or_b32 v0, v10, s11, v0
	v_sub_u32_e32 v12, 0x3f1, v11
	v_or_b32_e32 v10, 0x1000, v0
	v_med3_i32 v12, v12, 0, 13
	v_lshrrev_b32_e32 v13, v12, v10
	v_lshlrev_b32_e32 v12, v12, v13
	v_cmp_ne_u32_e64 s[0:1], v12, v10
	v_cndmask_b32_e64 v10, 0, 1, s[0:1]
	v_add_u32_e32 v11, 0xfffffc10, v11
	v_or_b32_e32 v10, v13, v10
	v_lshl_or_b32 v12, v11, 12, v0
	v_cmp_gt_i32_e64 s[0:1], 1, v11
	v_cndmask_b32_e64 v10, v12, v10, s[0:1]
	v_and_b32_e32 v12, 7, v10
	v_cmp_lt_i32_e64 s[0:1], 5, v12
	v_cmp_eq_u32_e64 s[2:3], 3, v12
	v_lshrrev_b32_e32 v10, 2, v10
	s_or_b64 s[0:1], s[2:3], s[0:1]
	v_addc_co_u32_e64 v10, s[0:1], 0, v10, s[0:1]
	v_cmp_gt_i32_e64 s[0:1], 31, v11
	v_cndmask_b32_e64 v10, v2, v10, s[0:1]
	v_cmp_ne_u32_e64 s[0:1], 0, v0
	v_cndmask_b32_e64 v0, 0, 1, s[0:1]
	v_lshl_or_b32 v0, v0, 9, v2
	v_cmp_eq_u32_e64 s[0:1], s14, v11
	v_cndmask_b32_e64 v0, v10, v0, s[0:1]
	s_mul_i32 s0, s9, 40
	s_mul_hi_u32 s1, s8, 40
	v_lshrrev_b32_e32 v1, 16, v1
	s_add_i32 s1, s1, s0
	s_mul_i32 s0, s8, 40
	v_and_or_b32 v0, v1, s15, v0
	v_and_b32_e32 v1, 0xffff, v7
	s_lshl_b64 s[6:7], s[0:1], 2
	v_lshl_or_b32 v7, v0, 16, v1
	v_mov_b32_e32 v1, s7
	v_add_co_u32_e64 v0, s[0:1], s6, v5
	v_addc_co_u32_e64 v1, s[0:1], v6, v1, s[0:1]
	global_store_dword v[0:1], v7, off
	s_and_b64 exec, exec, vcc
	s_cbranch_execz .LBB0_15
; %bb.14:
	global_load_dword v7, v[8:9], off offset:48
	global_load_dword v13, v[8:9], off offset:128
	ds_read2_b32 v[5:6], v22 offset0:12 offset1:32
	global_load_dword v14, v[8:9], off offset:208
	global_load_dword v15, v[8:9], off offset:288
	;; [unrolled: 1-line block ×4, first 2 shown]
	v_mov_b32_e32 v11, 0xfffffea0
	v_mad_u64_u32 v[0:1], s[2:3], s8, v11, v[0:1]
	s_waitcnt lgkmcnt(0)
	v_lshrrev_b32_e32 v8, 16, v5
	v_lshrrev_b32_e32 v18, 16, v6
	s_mul_i32 s0, s9, 0xfffffea0
	s_sub_i32 s0, s0, s8
	v_add_u32_e32 v1, s0, v1
	s_waitcnt vmcnt(5)
	v_mul_f16_sdwa v9, v8, v7 dst_sel:DWORD dst_unused:UNUSED_PAD src0_sel:DWORD src1_sel:WORD_1
	v_mul_f16_sdwa v10, v5, v7 dst_sel:DWORD dst_unused:UNUSED_PAD src0_sel:DWORD src1_sel:WORD_1
	v_fma_f16 v5, v5, v7, v9
	v_cvt_f32_f16_e32 v5, v5
	s_waitcnt vmcnt(4)
	v_mul_f16_sdwa v9, v18, v13 dst_sel:DWORD dst_unused:UNUSED_PAD src0_sel:DWORD src1_sel:WORD_1
	v_fma_f16 v7, v7, v8, -v10
	v_cvt_f32_f16_e32 v10, v7
	v_cvt_f64_f32_e32 v[7:8], v5
	v_fma_f16 v5, v6, v13, v9
	v_cvt_f32_f16_e32 v5, v5
	v_cvt_f64_f32_e32 v[9:10], v10
	v_mul_f64 v[7:8], v[7:8], s[12:13]
	v_mul_f16_sdwa v6, v6, v13 dst_sel:DWORD dst_unused:UNUSED_PAD src0_sel:DWORD src1_sel:WORD_1
	v_cvt_f64_f32_e32 v[11:12], v5
	v_mul_f64 v[9:10], v[9:10], s[12:13]
	v_fma_f16 v6, v13, v18, -v6
	v_cvt_f32_f16_e32 v6, v6
	v_mul_f64 v[11:12], v[11:12], s[12:13]
	v_and_or_b32 v5, v8, s10, v7
	v_cmp_ne_u32_e32 vcc, 0, v5
	v_lshrrev_b32_e32 v7, 8, v8
	v_and_or_b32 v9, v10, s10, v9
	v_bfe_u32 v19, v8, 20, 11
	v_cndmask_b32_e64 v5, 0, 1, vcc
	v_and_or_b32 v11, v12, s10, v11
	v_cmp_ne_u32_e32 vcc, 0, v9
	v_lshrrev_b32_e32 v20, 8, v10
	v_bfe_u32 v24, v10, 20, 11
	v_bfe_u32 v26, v12, 20, 11
	v_sub_u32_e32 v27, 0x3f1, v19
	v_cndmask_b32_e64 v9, 0, 1, vcc
	v_cmp_ne_u32_e32 vcc, 0, v11
	v_and_or_b32 v5, v7, s11, v5
	v_lshrrev_b32_e32 v25, 8, v12
	v_sub_u32_e32 v28, 0x3f1, v24
	v_cndmask_b32_e64 v11, 0, 1, vcc
	v_sub_u32_e32 v29, 0x3f1, v26
	v_med3_i32 v7, v27, 0, 13
	v_and_or_b32 v9, v20, s11, v9
	v_or_b32_e32 v27, 0x1000, v5
	v_add_u32_e32 v19, 0xfffffc10, v19
	v_med3_i32 v20, v28, 0, 13
	v_and_or_b32 v11, v25, s11, v11
	v_med3_i32 v25, v29, 0, 13
	v_cmp_ne_u32_e32 vcc, 0, v5
	v_or_b32_e32 v29, 0x1000, v9
	v_lshrrev_b32_e32 v32, v7, v27
	v_add_u32_e32 v24, 0xfffffc10, v24
	v_lshl_or_b32 v28, v19, 12, v5
	v_cndmask_b32_e64 v5, 0, 1, vcc
	v_cmp_ne_u32_e32 vcc, 0, v9
	v_or_b32_e32 v31, 0x1000, v11
	v_lshrrev_b32_e32 v33, v20, v29
	v_lshlrev_b32_e32 v7, v7, v32
	v_lshl_or_b32 v30, v24, 12, v9
	v_cndmask_b32_e64 v9, 0, 1, vcc
	v_lshrrev_b32_e32 v34, v25, v31
	v_lshlrev_b32_e32 v20, v20, v33
	v_cmp_ne_u32_e32 vcc, v7, v27
	v_lshlrev_b32_e32 v25, v25, v34
	v_cndmask_b32_e64 v7, 0, 1, vcc
	v_cmp_ne_u32_e32 vcc, v20, v29
	v_cndmask_b32_e64 v20, 0, 1, vcc
	v_cmp_ne_u32_e32 vcc, v25, v31
	v_cndmask_b32_e64 v25, 0, 1, vcc
	v_or_b32_e32 v7, v32, v7
	v_cmp_gt_i32_e32 vcc, 1, v19
	v_cndmask_b32_e32 v7, v28, v7, vcc
	v_or_b32_e32 v20, v33, v20
	v_cmp_gt_i32_e32 vcc, 1, v24
	v_and_b32_e32 v27, 7, v7
	v_cndmask_b32_e32 v20, v30, v20, vcc
	v_cmp_lt_i32_e32 vcc, 5, v27
	v_cmp_eq_u32_e64 s[0:1], 3, v27
	v_lshrrev_b32_e32 v7, 2, v7
	v_and_b32_e32 v28, 7, v20
	s_or_b64 vcc, s[0:1], vcc
	v_cmp_lt_i32_e64 s[2:3], 5, v28
	v_cmp_eq_u32_e64 s[4:5], 3, v28
	v_addc_co_u32_e32 v7, vcc, 0, v7, vcc
	v_lshrrev_b32_e32 v20, 2, v20
	s_or_b64 vcc, s[4:5], s[2:3]
	v_addc_co_u32_e32 v20, vcc, 0, v20, vcc
	v_cmp_gt_i32_e32 vcc, 31, v19
	v_cndmask_b32_e32 v7, v2, v7, vcc
	v_cmp_gt_i32_e32 vcc, 31, v24
	v_lshl_or_b32 v5, v5, 9, v2
	v_cndmask_b32_e32 v20, v2, v20, vcc
	v_cmp_eq_u32_e32 vcc, s14, v19
	v_lshrrev_b32_e32 v8, 16, v8
	v_lshl_or_b32 v9, v9, 9, v2
	v_cndmask_b32_e32 v5, v7, v5, vcc
	v_cmp_eq_u32_e32 vcc, s14, v24
	v_lshrrev_b32_e32 v10, 16, v10
	v_cndmask_b32_e32 v7, v20, v9, vcc
	v_and_or_b32 v5, v8, s15, v5
	v_and_or_b32 v7, v10, s15, v7
	v_and_b32_e32 v5, 0xffff, v5
	v_add_u32_e32 v26, 0xfffffc10, v26
	v_lshl_or_b32 v5, v7, 16, v5
	v_or_b32_e32 v25, v34, v25
	global_store_dword v[0:1], v5, off
	v_lshl_or_b32 v5, v26, 12, v11
	v_cmp_gt_i32_e32 vcc, 1, v26
	v_cndmask_b32_e32 v5, v5, v25, vcc
	v_and_b32_e32 v7, 7, v5
	v_cmp_lt_i32_e32 vcc, 5, v7
	v_cmp_eq_u32_e64 s[0:1], 3, v7
	v_lshrrev_b32_e32 v7, 2, v5
	v_cvt_f64_f32_e32 v[5:6], v6
	s_or_b64 vcc, s[0:1], vcc
	v_addc_co_u32_e32 v7, vcc, 0, v7, vcc
	v_mul_f64 v[5:6], v[5:6], s[12:13]
	v_cmp_gt_i32_e32 vcc, 31, v26
	v_cndmask_b32_e32 v7, v2, v7, vcc
	v_cmp_ne_u32_e32 vcc, 0, v11
	v_cndmask_b32_e64 v8, 0, 1, vcc
	v_lshl_or_b32 v8, v8, 9, v2
	v_cmp_eq_u32_e32 vcc, s14, v26
	v_cndmask_b32_e32 v7, v7, v8, vcc
	v_and_or_b32 v5, v6, s10, v5
	v_lshrrev_b32_e32 v8, 16, v12
	v_cmp_ne_u32_e32 vcc, 0, v5
	v_and_or_b32 v13, v8, s15, v7
	v_cndmask_b32_e64 v5, 0, 1, vcc
	v_lshrrev_b32_e32 v7, 8, v6
	v_bfe_u32 v8, v6, 20, 11
	v_and_or_b32 v5, v7, s11, v5
	v_sub_u32_e32 v9, 0x3f1, v8
	v_or_b32_e32 v7, 0x1000, v5
	v_med3_i32 v9, v9, 0, 13
	v_lshrrev_b32_e32 v10, v9, v7
	v_lshlrev_b32_e32 v9, v9, v10
	v_cmp_ne_u32_e32 vcc, v9, v7
	v_cndmask_b32_e64 v7, 0, 1, vcc
	v_add_u32_e32 v11, 0xfffffc10, v8
	v_or_b32_e32 v7, v10, v7
	v_lshl_or_b32 v8, v11, 12, v5
	v_cmp_gt_i32_e32 vcc, 1, v11
	v_cndmask_b32_e32 v7, v8, v7, vcc
	v_and_b32_e32 v8, 7, v7
	v_cmp_lt_i32_e32 vcc, 5, v8
	v_cmp_eq_u32_e64 s[0:1], 3, v8
	v_lshrrev_b32_e32 v7, 2, v7
	s_or_b64 vcc, s[0:1], vcc
	v_addc_co_u32_e32 v7, vcc, 0, v7, vcc
	ds_read2_b32 v[9:10], v22 offset0:52 offset1:72
	v_cmp_gt_i32_e32 vcc, 31, v11
	v_cndmask_b32_e32 v12, v2, v7, vcc
	v_mad_u64_u32 v[7:8], s[0:1], s8, v23, 0
	v_cmp_ne_u32_e32 vcc, 0, v5
	v_cndmask_b32_e64 v5, 0, 1, vcc
	v_lshl_or_b32 v5, v5, 9, v2
	v_cmp_eq_u32_e32 vcc, s14, v11
	s_waitcnt lgkmcnt(0)
	v_lshrrev_b32_e32 v19, 16, v9
	v_cndmask_b32_e32 v18, v12, v5, vcc
	v_mov_b32_e32 v5, v8
	s_waitcnt vmcnt(4)
	v_mul_f16_sdwa v8, v19, v14 dst_sel:DWORD dst_unused:UNUSED_PAD src0_sel:DWORD src1_sel:WORD_1
	v_fma_f16 v8, v9, v14, v8
	v_cvt_f32_f16_e32 v8, v8
	v_mad_u64_u32 v[11:12], s[0:1], s9, v23, v[5:6]
	v_lshrrev_b32_e32 v12, 16, v6
	v_cvt_f64_f32_e32 v[5:6], v8
	v_mov_b32_e32 v8, v11
	v_lshlrev_b64 v[7:8], 2, v[7:8]
	v_and_or_b32 v12, v12, s15, v18
	v_mul_f64 v[5:6], v[5:6], s[12:13]
	v_add_co_u32_e32 v7, vcc, v3, v7
	v_and_b32_e32 v11, 0xffff, v13
	v_addc_co_u32_e32 v8, vcc, v4, v8, vcc
	v_lshl_or_b32 v11, v12, 16, v11
	global_store_dword v[7:8], v11, off
	v_and_or_b32 v5, v6, s10, v5
	v_cmp_ne_u32_e32 vcc, 0, v5
	v_cndmask_b32_e64 v5, 0, 1, vcc
	v_lshrrev_b32_e32 v7, 8, v6
	v_bfe_u32 v8, v6, 20, 11
	v_and_or_b32 v5, v7, s11, v5
	v_sub_u32_e32 v11, 0x3f1, v8
	v_or_b32_e32 v7, 0x1000, v5
	v_med3_i32 v11, v11, 0, 13
	v_lshrrev_b32_e32 v12, v11, v7
	v_lshlrev_b32_e32 v11, v11, v12
	v_mul_f16_sdwa v9, v9, v14 dst_sel:DWORD dst_unused:UNUSED_PAD src0_sel:DWORD src1_sel:WORD_1
	v_cmp_ne_u32_e32 vcc, v11, v7
	v_fma_f16 v9, v14, v19, -v9
	v_cndmask_b32_e64 v7, 0, 1, vcc
	v_add_u32_e32 v11, 0xfffffc10, v8
	v_cvt_f32_f16_e32 v9, v9
	v_or_b32_e32 v7, v12, v7
	v_lshl_or_b32 v8, v11, 12, v5
	v_cmp_gt_i32_e32 vcc, 1, v11
	v_cndmask_b32_e32 v7, v8, v7, vcc
	v_and_b32_e32 v8, 7, v7
	v_cmp_lt_i32_e32 vcc, 5, v8
	v_cmp_eq_u32_e64 s[0:1], 3, v8
	v_lshrrev_b32_e32 v12, 2, v7
	v_cvt_f64_f32_e32 v[7:8], v9
	s_or_b64 vcc, s[0:1], vcc
	v_addc_co_u32_e32 v9, vcc, 0, v12, vcc
	v_mul_f64 v[7:8], v[7:8], s[12:13]
	v_cmp_gt_i32_e32 vcc, 31, v11
	v_cndmask_b32_e32 v9, v2, v9, vcc
	v_cmp_ne_u32_e32 vcc, 0, v5
	v_cndmask_b32_e64 v5, 0, 1, vcc
	v_lshl_or_b32 v5, v5, 9, v2
	v_cmp_eq_u32_e32 vcc, s14, v11
	v_cndmask_b32_e32 v5, v9, v5, vcc
	v_lshrrev_b32_e32 v6, 16, v6
	v_and_or_b32 v9, v6, s15, v5
	v_and_or_b32 v5, v8, s10, v7
	v_cmp_ne_u32_e32 vcc, 0, v5
	v_cndmask_b32_e64 v5, 0, 1, vcc
	v_lshrrev_b32_e32 v6, 8, v8
	v_bfe_u32 v7, v8, 20, 11
	v_and_or_b32 v5, v6, s11, v5
	v_sub_u32_e32 v11, 0x3f1, v7
	v_or_b32_e32 v6, 0x1000, v5
	v_med3_i32 v11, v11, 0, 13
	v_lshrrev_b32_e32 v12, v11, v6
	v_lshlrev_b32_e32 v11, v11, v12
	v_cmp_ne_u32_e32 vcc, v11, v6
	v_cndmask_b32_e64 v6, 0, 1, vcc
	v_add_u32_e32 v7, 0xfffffc10, v7
	v_or_b32_e32 v6, v12, v6
	v_lshl_or_b32 v11, v7, 12, v5
	v_cmp_gt_i32_e32 vcc, 1, v7
	v_cndmask_b32_e32 v6, v11, v6, vcc
	v_and_b32_e32 v11, 7, v6
	v_cmp_lt_i32_e32 vcc, 5, v11
	v_cmp_eq_u32_e64 s[0:1], 3, v11
	v_lshrrev_b32_e32 v11, 16, v10
	v_lshrrev_b32_e32 v6, 2, v6
	s_or_b64 vcc, s[0:1], vcc
	s_waitcnt vmcnt(4)
	v_mul_f16_sdwa v12, v11, v15 dst_sel:DWORD dst_unused:UNUSED_PAD src0_sel:DWORD src1_sel:WORD_1
	v_addc_co_u32_e32 v6, vcc, 0, v6, vcc
	v_fma_f16 v12, v10, v15, v12
	v_cmp_gt_i32_e32 vcc, 31, v7
	v_cvt_f32_f16_e32 v12, v12
	v_cndmask_b32_e32 v6, v2, v6, vcc
	v_cmp_ne_u32_e32 vcc, 0, v5
	v_cndmask_b32_e64 v5, 0, 1, vcc
	v_lshl_or_b32 v5, v5, 9, v2
	v_cmp_eq_u32_e32 vcc, s14, v7
	v_cndmask_b32_e32 v7, v6, v5, vcc
	v_cvt_f64_f32_e32 v[5:6], v12
	v_lshrrev_b32_e32 v8, 16, v8
	v_mov_b32_e32 v12, s7
	v_add_co_u32_e32 v0, vcc, s6, v0
	v_mul_f64 v[5:6], v[5:6], s[12:13]
	v_and_or_b32 v7, v8, s15, v7
	v_and_b32_e32 v8, 0xffff, v9
	v_addc_co_u32_e32 v1, vcc, v1, v12, vcc
	v_lshl_or_b32 v7, v7, 16, v8
	global_store_dword v[0:1], v7, off
	v_mul_f16_sdwa v10, v10, v15 dst_sel:DWORD dst_unused:UNUSED_PAD src0_sel:DWORD src1_sel:WORD_1
	v_and_or_b32 v5, v6, s10, v5
	v_cmp_ne_u32_e32 vcc, 0, v5
	v_cndmask_b32_e64 v5, 0, 1, vcc
	v_lshrrev_b32_e32 v7, 8, v6
	v_bfe_u32 v8, v6, 20, 11
	v_and_or_b32 v5, v7, s11, v5
	v_sub_u32_e32 v9, 0x3f1, v8
	v_or_b32_e32 v7, 0x1000, v5
	v_med3_i32 v9, v9, 0, 13
	v_lshrrev_b32_e32 v14, v9, v7
	v_lshlrev_b32_e32 v9, v9, v14
	v_cmp_ne_u32_e32 vcc, v9, v7
	v_fma_f16 v10, v15, v11, -v10
	v_cndmask_b32_e64 v7, 0, 1, vcc
	v_add_u32_e32 v9, 0xfffffc10, v8
	v_cvt_f32_f16_e32 v10, v10
	v_or_b32_e32 v7, v14, v7
	v_lshl_or_b32 v8, v9, 12, v5
	v_cmp_gt_i32_e32 vcc, 1, v9
	v_cndmask_b32_e32 v7, v8, v7, vcc
	v_and_b32_e32 v8, 7, v7
	v_cmp_lt_i32_e32 vcc, 5, v8
	v_cmp_eq_u32_e64 s[0:1], 3, v8
	v_lshrrev_b32_e32 v11, 2, v7
	v_cvt_f64_f32_e32 v[7:8], v10
	s_or_b64 vcc, s[0:1], vcc
	v_addc_co_u32_e32 v10, vcc, 0, v11, vcc
	v_mul_f64 v[7:8], v[7:8], s[12:13]
	v_cmp_gt_i32_e32 vcc, 31, v9
	v_cndmask_b32_e32 v10, v2, v10, vcc
	v_cmp_ne_u32_e32 vcc, 0, v5
	v_cndmask_b32_e64 v5, 0, 1, vcc
	v_lshl_or_b32 v5, v5, 9, v2
	v_cmp_eq_u32_e32 vcc, s14, v9
	v_cndmask_b32_e32 v5, v10, v5, vcc
	v_lshrrev_b32_e32 v6, 16, v6
	v_and_or_b32 v11, v6, s15, v5
	v_and_or_b32 v5, v8, s10, v7
	v_cmp_ne_u32_e32 vcc, 0, v5
	v_cndmask_b32_e64 v5, 0, 1, vcc
	v_lshrrev_b32_e32 v6, 8, v8
	v_bfe_u32 v7, v8, 20, 11
	v_and_or_b32 v5, v6, s11, v5
	v_sub_u32_e32 v9, 0x3f1, v7
	v_or_b32_e32 v6, 0x1000, v5
	v_med3_i32 v9, v9, 0, 13
	v_lshrrev_b32_e32 v10, v9, v6
	v_lshlrev_b32_e32 v9, v9, v10
	v_cmp_ne_u32_e32 vcc, v9, v6
	v_cndmask_b32_e64 v6, 0, 1, vcc
	v_add_u32_e32 v7, 0xfffffc10, v7
	v_or_b32_e32 v6, v10, v6
	v_lshl_or_b32 v9, v7, 12, v5
	v_cmp_gt_i32_e32 vcc, 1, v7
	v_cndmask_b32_e32 v6, v9, v6, vcc
	v_and_b32_e32 v9, 7, v6
	v_cmp_lt_i32_e32 vcc, 5, v9
	v_cmp_eq_u32_e64 s[0:1], 3, v9
	v_lshrrev_b32_e32 v6, 2, v6
	s_or_b64 vcc, s[0:1], vcc
	v_addc_co_u32_e32 v6, vcc, 0, v6, vcc
	ds_read2_b32 v[9:10], v22 offset0:92 offset1:112
	v_cmp_gt_i32_e32 vcc, 31, v7
	v_cndmask_b32_e32 v14, v2, v6, vcc
	v_cmp_ne_u32_e32 vcc, 0, v5
	v_cndmask_b32_e64 v15, 0, 1, vcc
	v_lshl_or_b32 v15, v15, 9, v2
	v_cmp_eq_u32_e32 vcc, s14, v7
	v_cndmask_b32_e32 v14, v14, v15, vcc
	s_waitcnt lgkmcnt(0)
	v_lshrrev_b32_e32 v15, 16, v9
	v_or_b32_e32 v13, 0x48, v21
	s_waitcnt vmcnt(4)
	v_mul_f16_sdwa v7, v15, v16 dst_sel:DWORD dst_unused:UNUSED_PAD src0_sel:DWORD src1_sel:WORD_1
	v_mad_u64_u32 v[5:6], s[0:1], s8, v13, 0
	v_fma_f16 v7, v9, v16, v7
	v_cvt_f32_f16_e32 v18, v7
	v_mad_u64_u32 v[6:7], s[0:1], s9, v13, v[6:7]
	v_lshrrev_b32_e32 v13, 16, v8
	v_cvt_f64_f32_e32 v[7:8], v18
	v_lshlrev_b64 v[5:6], 2, v[5:6]
	v_and_or_b32 v13, v13, s15, v14
	v_and_b32_e32 v11, 0xffff, v11
	v_mul_f64 v[7:8], v[7:8], s[12:13]
	v_add_co_u32_e32 v5, vcc, v3, v5
	v_lshl_or_b32 v11, v13, 16, v11
	v_addc_co_u32_e32 v6, vcc, v4, v6, vcc
	global_store_dword v[5:6], v11, off
	v_mul_f16_sdwa v9, v9, v16 dst_sel:DWORD dst_unused:UNUSED_PAD src0_sel:DWORD src1_sel:WORD_1
	v_and_or_b32 v5, v8, s10, v7
	v_cmp_ne_u32_e32 vcc, 0, v5
	v_cndmask_b32_e64 v5, 0, 1, vcc
	v_lshrrev_b32_e32 v6, 8, v8
	v_and_or_b32 v7, v6, s11, v5
	v_bfe_u32 v6, v8, 20, 11
	v_sub_u32_e32 v11, 0x3f1, v6
	v_or_b32_e32 v5, 0x1000, v7
	v_med3_i32 v11, v11, 0, 13
	v_lshrrev_b32_e32 v13, v11, v5
	v_lshlrev_b32_e32 v11, v11, v13
	v_cmp_ne_u32_e32 vcc, v11, v5
	v_fma_f16 v9, v16, v15, -v9
	v_cndmask_b32_e64 v5, 0, 1, vcc
	v_add_u32_e32 v11, 0xfffffc10, v6
	v_cvt_f32_f16_e32 v9, v9
	v_or_b32_e32 v5, v13, v5
	v_lshl_or_b32 v6, v11, 12, v7
	v_cmp_gt_i32_e32 vcc, 1, v11
	v_cndmask_b32_e32 v5, v6, v5, vcc
	v_and_b32_e32 v6, 7, v5
	v_cmp_lt_i32_e32 vcc, 5, v6
	v_cmp_eq_u32_e64 s[0:1], 3, v6
	v_lshrrev_b32_e32 v13, 2, v5
	v_cvt_f64_f32_e32 v[5:6], v9
	s_or_b64 vcc, s[0:1], vcc
	v_addc_co_u32_e32 v9, vcc, 0, v13, vcc
	v_mul_f64 v[5:6], v[5:6], s[12:13]
	v_cmp_gt_i32_e32 vcc, 31, v11
	v_cndmask_b32_e32 v9, v2, v9, vcc
	v_cmp_ne_u32_e32 vcc, 0, v7
	v_cndmask_b32_e64 v7, 0, 1, vcc
	v_lshl_or_b32 v7, v7, 9, v2
	v_cmp_eq_u32_e32 vcc, s14, v11
	v_cndmask_b32_e32 v7, v9, v7, vcc
	v_and_or_b32 v5, v6, s10, v5
	v_lshrrev_b32_e32 v8, 16, v8
	v_cmp_ne_u32_e32 vcc, 0, v5
	v_and_or_b32 v9, v8, s15, v7
	v_cndmask_b32_e64 v5, 0, 1, vcc
	v_lshrrev_b32_e32 v7, 8, v6
	v_bfe_u32 v8, v6, 20, 11
	v_and_or_b32 v5, v7, s11, v5
	v_sub_u32_e32 v11, 0x3f1, v8
	v_or_b32_e32 v7, 0x1000, v5
	v_med3_i32 v11, v11, 0, 13
	v_lshrrev_b32_e32 v13, v11, v7
	v_lshlrev_b32_e32 v11, v11, v13
	v_cmp_ne_u32_e32 vcc, v11, v7
	v_cndmask_b32_e64 v7, 0, 1, vcc
	v_add_u32_e32 v8, 0xfffffc10, v8
	v_or_b32_e32 v7, v13, v7
	v_lshl_or_b32 v11, v8, 12, v5
	v_cmp_gt_i32_e32 vcc, 1, v8
	v_cndmask_b32_e32 v7, v11, v7, vcc
	v_and_b32_e32 v11, 7, v7
	v_cmp_lt_i32_e32 vcc, 5, v11
	v_cmp_eq_u32_e64 s[0:1], 3, v11
	v_lshrrev_b32_e32 v11, 16, v10
	v_lshrrev_b32_e32 v7, 2, v7
	s_or_b64 vcc, s[0:1], vcc
	s_waitcnt vmcnt(4)
	v_mul_f16_sdwa v13, v11, v17 dst_sel:DWORD dst_unused:UNUSED_PAD src0_sel:DWORD src1_sel:WORD_1
	v_addc_co_u32_e32 v7, vcc, 0, v7, vcc
	v_fma_f16 v13, v10, v17, v13
	v_cmp_gt_i32_e32 vcc, 31, v8
	v_cvt_f32_f16_e32 v13, v13
	v_cndmask_b32_e32 v7, v2, v7, vcc
	v_cmp_ne_u32_e32 vcc, 0, v5
	v_cndmask_b32_e64 v5, 0, 1, vcc
	v_lshl_or_b32 v5, v5, 9, v2
	v_cmp_eq_u32_e32 vcc, s14, v8
	v_cndmask_b32_e32 v5, v7, v5, vcc
	v_cvt_f64_f32_e32 v[7:8], v13
	v_lshrrev_b32_e32 v6, 16, v6
	v_and_or_b32 v13, v6, s15, v5
	v_and_b32_e32 v9, 0xffff, v9
	v_mul_f64 v[5:6], v[7:8], s[12:13]
	v_add_co_u32_e32 v0, vcc, s6, v0
	v_lshl_or_b32 v7, v13, 16, v9
	v_addc_co_u32_e32 v1, vcc, v1, v12, vcc
	global_store_dword v[0:1], v7, off
	v_or_b32_e32 v7, 0x70, v21
	v_and_or_b32 v0, v6, s10, v5
	v_cmp_ne_u32_e32 vcc, 0, v0
	v_cndmask_b32_e64 v0, 0, 1, vcc
	v_lshrrev_b32_e32 v1, 8, v6
	v_and_or_b32 v5, v1, s11, v0
	v_bfe_u32 v1, v6, 20, 11
	v_sub_u32_e32 v8, 0x3f1, v1
	v_or_b32_e32 v0, 0x1000, v5
	v_med3_i32 v8, v8, 0, 13
	v_lshrrev_b32_e32 v9, v8, v0
	v_lshlrev_b32_e32 v8, v8, v9
	v_cmp_ne_u32_e32 vcc, v8, v0
	v_cndmask_b32_e64 v0, 0, 1, vcc
	v_or_b32_e32 v0, v9, v0
	v_mul_f16_sdwa v9, v10, v17 dst_sel:DWORD dst_unused:UNUSED_PAD src0_sel:DWORD src1_sel:WORD_1
	v_fma_f16 v9, v17, v11, -v9
	v_add_u32_e32 v8, 0xfffffc10, v1
	v_cvt_f32_f16_e32 v9, v9
	v_lshl_or_b32 v1, v8, 12, v5
	v_cmp_gt_i32_e32 vcc, 1, v8
	v_cndmask_b32_e32 v0, v1, v0, vcc
	v_and_b32_e32 v1, 7, v0
	v_cmp_lt_i32_e32 vcc, 5, v1
	v_cmp_eq_u32_e64 s[0:1], 3, v1
	v_lshrrev_b32_e32 v10, 2, v0
	v_cvt_f64_f32_e32 v[0:1], v9
	s_or_b64 vcc, s[0:1], vcc
	v_addc_co_u32_e32 v9, vcc, 0, v10, vcc
	v_mul_f64 v[0:1], v[0:1], s[12:13]
	v_cmp_gt_i32_e32 vcc, 31, v8
	v_cndmask_b32_e32 v9, v2, v9, vcc
	v_cmp_ne_u32_e32 vcc, 0, v5
	v_cndmask_b32_e64 v5, 0, 1, vcc
	v_lshl_or_b32 v5, v5, 9, v2
	v_cmp_eq_u32_e32 vcc, s14, v8
	v_cndmask_b32_e32 v5, v9, v5, vcc
	v_and_or_b32 v0, v1, s10, v0
	v_lshrrev_b32_e32 v6, 16, v6
	v_cmp_ne_u32_e32 vcc, 0, v0
	v_and_or_b32 v8, v6, s15, v5
	v_cndmask_b32_e64 v0, 0, 1, vcc
	v_lshrrev_b32_e32 v5, 8, v1
	v_bfe_u32 v6, v1, 20, 11
	v_and_or_b32 v0, v5, s11, v0
	v_sub_u32_e32 v9, 0x3f1, v6
	v_or_b32_e32 v5, 0x1000, v0
	v_med3_i32 v9, v9, 0, 13
	v_lshrrev_b32_e32 v10, v9, v5
	v_lshlrev_b32_e32 v9, v9, v10
	v_cmp_ne_u32_e32 vcc, v9, v5
	v_cndmask_b32_e64 v5, 0, 1, vcc
	v_add_u32_e32 v9, 0xfffffc10, v6
	v_or_b32_e32 v5, v10, v5
	v_lshl_or_b32 v6, v9, 12, v0
	v_cmp_gt_i32_e32 vcc, 1, v9
	v_cndmask_b32_e32 v5, v6, v5, vcc
	v_and_b32_e32 v6, 7, v5
	v_cmp_lt_i32_e32 vcc, 5, v6
	v_cmp_eq_u32_e64 s[0:1], 3, v6
	v_lshrrev_b32_e32 v5, 2, v5
	s_or_b64 vcc, s[0:1], vcc
	v_addc_co_u32_e32 v5, vcc, 0, v5, vcc
	v_cmp_gt_i32_e32 vcc, 31, v9
	v_cndmask_b32_e32 v10, v2, v5, vcc
	v_mad_u64_u32 v[5:6], s[0:1], s8, v7, 0
	v_cmp_ne_u32_e32 vcc, 0, v0
	v_cndmask_b32_e64 v0, 0, 1, vcc
	v_lshl_or_b32 v2, v0, 9, v2
	v_mov_b32_e32 v0, v6
	v_mad_u64_u32 v[6:7], s[0:1], s9, v7, v[0:1]
	v_cmp_eq_u32_e32 vcc, s14, v9
	v_cndmask_b32_e32 v0, v10, v2, vcc
	v_lshrrev_b32_e32 v1, 16, v1
	v_and_or_b32 v0, v1, s15, v0
	v_and_b32_e32 v1, 0xffff, v8
	v_lshl_or_b32 v2, v0, 16, v1
	v_lshlrev_b64 v[0:1], 2, v[5:6]
	v_add_co_u32_e32 v0, vcc, v3, v0
	v_addc_co_u32_e32 v1, vcc, v4, v1, vcc
	global_store_dword v[0:1], v2, off
.LBB0_15:
	s_endpgm
	.section	.rodata,"a",@progbits
	.p2align	6, 0x0
	.amdhsa_kernel bluestein_single_back_len120_dim1_half_op_CI_CI
		.amdhsa_group_segment_fixed_size 2400
		.amdhsa_private_segment_fixed_size 0
		.amdhsa_kernarg_size 104
		.amdhsa_user_sgpr_count 6
		.amdhsa_user_sgpr_private_segment_buffer 1
		.amdhsa_user_sgpr_dispatch_ptr 0
		.amdhsa_user_sgpr_queue_ptr 0
		.amdhsa_user_sgpr_kernarg_segment_ptr 1
		.amdhsa_user_sgpr_dispatch_id 0
		.amdhsa_user_sgpr_flat_scratch_init 0
		.amdhsa_user_sgpr_private_segment_size 0
		.amdhsa_uses_dynamic_stack 0
		.amdhsa_system_sgpr_private_segment_wavefront_offset 0
		.amdhsa_system_sgpr_workgroup_id_x 1
		.amdhsa_system_sgpr_workgroup_id_y 0
		.amdhsa_system_sgpr_workgroup_id_z 0
		.amdhsa_system_sgpr_workgroup_info 0
		.amdhsa_system_vgpr_workitem_id 0
		.amdhsa_next_free_vgpr 61
		.amdhsa_next_free_sgpr 19
		.amdhsa_reserve_vcc 1
		.amdhsa_reserve_flat_scratch 0
		.amdhsa_float_round_mode_32 0
		.amdhsa_float_round_mode_16_64 0
		.amdhsa_float_denorm_mode_32 3
		.amdhsa_float_denorm_mode_16_64 3
		.amdhsa_dx10_clamp 1
		.amdhsa_ieee_mode 1
		.amdhsa_fp16_overflow 0
		.amdhsa_exception_fp_ieee_invalid_op 0
		.amdhsa_exception_fp_denorm_src 0
		.amdhsa_exception_fp_ieee_div_zero 0
		.amdhsa_exception_fp_ieee_overflow 0
		.amdhsa_exception_fp_ieee_underflow 0
		.amdhsa_exception_fp_ieee_inexact 0
		.amdhsa_exception_int_div_zero 0
	.end_amdhsa_kernel
	.text
.Lfunc_end0:
	.size	bluestein_single_back_len120_dim1_half_op_CI_CI, .Lfunc_end0-bluestein_single_back_len120_dim1_half_op_CI_CI
                                        ; -- End function
	.section	.AMDGPU.csdata,"",@progbits
; Kernel info:
; codeLenInByte = 14824
; NumSgprs: 23
; NumVgprs: 61
; ScratchSize: 0
; MemoryBound: 0
; FloatMode: 240
; IeeeMode: 1
; LDSByteSize: 2400 bytes/workgroup (compile time only)
; SGPRBlocks: 2
; VGPRBlocks: 15
; NumSGPRsForWavesPerEU: 23
; NumVGPRsForWavesPerEU: 61
; Occupancy: 4
; WaveLimiterHint : 1
; COMPUTE_PGM_RSRC2:SCRATCH_EN: 0
; COMPUTE_PGM_RSRC2:USER_SGPR: 6
; COMPUTE_PGM_RSRC2:TRAP_HANDLER: 0
; COMPUTE_PGM_RSRC2:TGID_X_EN: 1
; COMPUTE_PGM_RSRC2:TGID_Y_EN: 0
; COMPUTE_PGM_RSRC2:TGID_Z_EN: 0
; COMPUTE_PGM_RSRC2:TIDIG_COMP_CNT: 0
	.type	__hip_cuid_e441306b33ea39bc,@object ; @__hip_cuid_e441306b33ea39bc
	.section	.bss,"aw",@nobits
	.globl	__hip_cuid_e441306b33ea39bc
__hip_cuid_e441306b33ea39bc:
	.byte	0                               ; 0x0
	.size	__hip_cuid_e441306b33ea39bc, 1

	.ident	"AMD clang version 19.0.0git (https://github.com/RadeonOpenCompute/llvm-project roc-6.4.0 25133 c7fe45cf4b819c5991fe208aaa96edf142730f1d)"
	.section	".note.GNU-stack","",@progbits
	.addrsig
	.addrsig_sym __hip_cuid_e441306b33ea39bc
	.amdgpu_metadata
---
amdhsa.kernels:
  - .args:
      - .actual_access:  read_only
        .address_space:  global
        .offset:         0
        .size:           8
        .value_kind:     global_buffer
      - .actual_access:  read_only
        .address_space:  global
        .offset:         8
        .size:           8
        .value_kind:     global_buffer
      - .actual_access:  read_only
        .address_space:  global
        .offset:         16
        .size:           8
        .value_kind:     global_buffer
      - .actual_access:  read_only
        .address_space:  global
        .offset:         24
        .size:           8
        .value_kind:     global_buffer
      - .actual_access:  read_only
        .address_space:  global
        .offset:         32
        .size:           8
        .value_kind:     global_buffer
      - .offset:         40
        .size:           8
        .value_kind:     by_value
      - .address_space:  global
        .offset:         48
        .size:           8
        .value_kind:     global_buffer
      - .address_space:  global
        .offset:         56
        .size:           8
        .value_kind:     global_buffer
      - .address_space:  global
        .offset:         64
        .size:           8
        .value_kind:     global_buffer
      - .address_space:  global
        .offset:         72
        .size:           8
        .value_kind:     global_buffer
      - .offset:         80
        .size:           4
        .value_kind:     by_value
      - .address_space:  global
        .offset:         88
        .size:           8
        .value_kind:     global_buffer
      - .address_space:  global
        .offset:         96
        .size:           8
        .value_kind:     global_buffer
    .group_segment_fixed_size: 2400
    .kernarg_segment_align: 8
    .kernarg_segment_size: 104
    .language:       OpenCL C
    .language_version:
      - 2
      - 0
    .max_flat_workgroup_size: 60
    .name:           bluestein_single_back_len120_dim1_half_op_CI_CI
    .private_segment_fixed_size: 0
    .sgpr_count:     23
    .sgpr_spill_count: 0
    .symbol:         bluestein_single_back_len120_dim1_half_op_CI_CI.kd
    .uniform_work_group_size: 1
    .uses_dynamic_stack: false
    .vgpr_count:     61
    .vgpr_spill_count: 0
    .wavefront_size: 64
amdhsa.target:   amdgcn-amd-amdhsa--gfx906
amdhsa.version:
  - 1
  - 2
...

	.end_amdgpu_metadata
